;; amdgpu-corpus repo=ROCm/rocFFT kind=compiled arch=gfx1030 opt=O3
	.text
	.amdgcn_target "amdgcn-amd-amdhsa--gfx1030"
	.amdhsa_code_object_version 6
	.protected	bluestein_single_back_len1309_dim1_half_op_CI_CI ; -- Begin function bluestein_single_back_len1309_dim1_half_op_CI_CI
	.globl	bluestein_single_back_len1309_dim1_half_op_CI_CI
	.p2align	8
	.type	bluestein_single_back_len1309_dim1_half_op_CI_CI,@function
bluestein_single_back_len1309_dim1_half_op_CI_CI: ; @bluestein_single_back_len1309_dim1_half_op_CI_CI
; %bb.0:
	s_load_dwordx4 s[0:3], s[4:5], 0x28
	v_mul_u32_u24_e32 v1, 0x227, v0
	v_mov_b32_e32 v17, 0
	v_lshrrev_b32_e32 v1, 16, v1
	v_add_nc_u32_e32 v16, s6, v1
	s_waitcnt lgkmcnt(0)
	v_cmp_gt_u64_e32 vcc_lo, s[0:1], v[16:17]
	s_and_saveexec_b32 s0, vcc_lo
	s_cbranch_execz .LBB0_23
; %bb.1:
	s_clause 0x1
	s_load_dwordx2 s[8:9], s[4:5], 0x0
	s_load_dwordx2 s[10:11], s[4:5], 0x38
	v_mul_lo_u16 v1, 0x77, v1
	v_sub_nc_u16 v0, v0, v1
	v_and_b32_e32 v46, 0xffff, v0
	v_cmp_gt_u16_e32 vcc_lo, 0x4d, v0
	v_lshlrev_b32_e32 v45, 2, v46
	s_and_saveexec_b32 s1, vcc_lo
	s_cbranch_execz .LBB0_3
; %bb.2:
	s_load_dwordx2 s[6:7], s[4:5], 0x18
	v_add_nc_u32_e32 v37, 0x600, v45
	v_add_nc_u32_e32 v38, 0x800, v45
	;; [unrolled: 1-line block ×3, first 2 shown]
	s_waitcnt lgkmcnt(0)
	s_load_dwordx4 s[12:15], s[6:7], 0x0
	s_waitcnt lgkmcnt(0)
	v_mad_u64_u32 v[0:1], null, s14, v16, 0
	v_mad_u64_u32 v[2:3], null, s12, v46, 0
	s_mul_i32 s6, s13, 0x134
	s_mul_hi_u32 s7, s12, 0x134
	v_mad_u64_u32 v[4:5], null, s15, v16, v[1:2]
	v_mad_u64_u32 v[5:6], null, s13, v46, v[3:4]
	v_mov_b32_e32 v1, v4
	v_lshlrev_b64 v[0:1], 2, v[0:1]
	v_mov_b32_e32 v3, v5
	v_add_co_u32 v0, s0, s2, v0
	v_lshlrev_b64 v[2:3], 2, v[2:3]
	v_add_co_ci_u32_e64 v1, s0, s3, v1, s0
	s_mul_i32 s2, s12, 0x134
	s_add_i32 s3, s7, s6
	v_add_co_u32 v0, s0, v0, v2
	v_add_co_ci_u32_e64 v1, s0, v1, v3, s0
	v_add_co_u32 v2, s0, v0, s2
	v_add_co_ci_u32_e64 v3, s0, s3, v1, s0
	v_add_co_u32 v6, s0, s8, v45
	v_add_co_ci_u32_e64 v7, null, s9, 0, s0
	v_add_co_u32 v4, s0, v2, s2
	v_add_co_ci_u32_e64 v5, s0, s3, v3, s0
	s_clause 0x1
	global_load_dword v8, v[0:1], off
	global_load_dword v9, v[2:3], off
	v_add_co_u32 v0, s0, v4, s2
	v_add_co_ci_u32_e64 v1, s0, s3, v5, s0
	s_clause 0x6
	global_load_dword v10, v45, s[8:9]
	global_load_dword v11, v45, s[8:9] offset:308
	global_load_dword v12, v45, s[8:9] offset:616
	;; [unrolled: 1-line block ×6, first 2 shown]
	s_clause 0x1
	global_load_dword v18, v[4:5], off
	global_load_dword v19, v[0:1], off
	v_add_co_u32 v0, s0, v0, s2
	v_add_co_ci_u32_e64 v1, s0, s3, v1, s0
	v_add_co_u32 v2, s0, 0x800, v6
	v_add_co_ci_u32_e64 v3, s0, 0, v7, s0
	global_load_dword v20, v[0:1], off
	v_add_co_u32 v0, s0, v0, s2
	v_add_co_ci_u32_e64 v1, s0, s3, v1, s0
	s_clause 0x1
	global_load_dword v21, v[2:3], off offset:108
	global_load_dword v22, v[2:3], off offset:416
	v_add_co_u32 v4, s0, v0, s2
	v_add_co_ci_u32_e64 v5, s0, s3, v1, s0
	global_load_dword v23, v[0:1], off
	v_add_co_u32 v0, s0, v4, s2
	v_add_co_ci_u32_e64 v1, s0, s3, v5, s0
	global_load_dword v24, v[4:5], off
	;; [unrolled: 3-line block ×4, first 2 shown]
	v_add_co_u32 v4, s0, v0, s2
	v_add_co_ci_u32_e64 v5, s0, s3, v1, s0
	v_add_co_u32 v6, s0, 0x1000, v6
	global_load_dword v27, v[2:3], off offset:724
	global_load_dword v28, v[0:1], off
	global_load_dword v29, v[4:5], off
	v_add_co_ci_u32_e64 v7, s0, 0, v7, s0
	v_add_co_u32 v0, s0, v4, s2
	v_add_co_ci_u32_e64 v1, s0, s3, v5, s0
	s_clause 0x3
	global_load_dword v4, v[2:3], off offset:1032
	global_load_dword v5, v[2:3], off offset:1340
	;; [unrolled: 1-line block ×4, first 2 shown]
	v_add_co_u32 v2, s0, v0, s2
	v_add_co_ci_u32_e64 v3, s0, s3, v1, s0
	global_load_dword v32, v[0:1], off
	v_add_co_u32 v0, s0, v2, s2
	v_add_co_ci_u32_e64 v1, s0, s3, v3, s0
	global_load_dword v33, v[2:3], off
	;; [unrolled: 3-line block ×4, first 2 shown]
	v_add_co_u32 v2, s0, v0, s2
	v_add_co_ci_u32_e64 v3, s0, s3, v1, s0
	global_load_dword v36, v[6:7], off offset:216
	global_load_dword v0, v[0:1], off
	global_load_dword v1, v[2:3], off
	s_clause 0x1
	global_load_dword v2, v[6:7], off offset:524
	global_load_dword v3, v[6:7], off offset:832
	v_add_nc_u32_e32 v7, 0x400, v45
	s_waitcnt vmcnt(33)
	v_lshrrev_b32_e32 v6, 16, v8
	s_waitcnt vmcnt(31)
	v_mul_f16_sdwa v39, v10, v8 dst_sel:DWORD dst_unused:UNUSED_PAD src0_sel:WORD_1 src1_sel:DWORD
	v_lshrrev_b32_e32 v41, 16, v9
	s_waitcnt vmcnt(30)
	v_mul_f16_sdwa v43, v11, v9 dst_sel:DWORD dst_unused:UNUSED_PAD src0_sel:WORD_1 src1_sel:DWORD
	v_mul_f16_sdwa v40, v10, v6 dst_sel:DWORD dst_unused:UNUSED_PAD src0_sel:WORD_1 src1_sel:DWORD
	v_fma_f16 v6, v10, v6, -v39
	v_fma_f16 v39, v11, v41, -v43
	v_fmac_f16_e32 v40, v10, v8
	v_mul_f16_sdwa v8, v11, v41 dst_sel:DWORD dst_unused:UNUSED_PAD src0_sel:WORD_1 src1_sel:DWORD
	s_waitcnt vmcnt(24)
	v_lshrrev_b32_e32 v10, 16, v18
	v_mul_f16_sdwa v41, v12, v18 dst_sel:DWORD dst_unused:UNUSED_PAD src0_sel:WORD_1 src1_sel:DWORD
	v_pack_b32_f16 v6, v40, v6
	v_fmac_f16_e32 v8, v11, v9
	v_mul_f16_sdwa v9, v12, v10 dst_sel:DWORD dst_unused:UNUSED_PAD src0_sel:WORD_1 src1_sel:DWORD
	s_waitcnt vmcnt(23)
	v_lshrrev_b32_e32 v11, 16, v19
	v_mul_f16_sdwa v40, v13, v19 dst_sel:DWORD dst_unused:UNUSED_PAD src0_sel:WORD_1 src1_sel:DWORD
	v_fma_f16 v10, v12, v10, -v41
	v_pack_b32_f16 v8, v8, v39
	v_fmac_f16_e32 v9, v12, v18
	v_mul_f16_sdwa v12, v13, v11 dst_sel:DWORD dst_unused:UNUSED_PAD src0_sel:WORD_1 src1_sel:DWORD
	s_waitcnt vmcnt(22)
	v_lshrrev_b32_e32 v18, 16, v20
	v_fma_f16 v11, v13, v11, -v40
	v_mul_f16_sdwa v39, v14, v20 dst_sel:DWORD dst_unused:UNUSED_PAD src0_sel:WORD_1 src1_sel:DWORD
	ds_write2_b32 v45, v6, v8 offset1:77
	v_pack_b32_f16 v6, v9, v10
	v_fmac_f16_e32 v12, v13, v19
	v_mul_f16_sdwa v8, v14, v18 dst_sel:DWORD dst_unused:UNUSED_PAD src0_sel:WORD_1 src1_sel:DWORD
	s_waitcnt vmcnt(19)
	v_lshrrev_b32_e32 v9, 16, v23
	v_mul_f16_sdwa v10, v15, v23 dst_sel:DWORD dst_unused:UNUSED_PAD src0_sel:WORD_1 src1_sel:DWORD
	v_fma_f16 v13, v14, v18, -v39
	v_pack_b32_f16 v11, v12, v11
	v_fmac_f16_e32 v8, v14, v20
	v_mul_f16_sdwa v12, v15, v9 dst_sel:DWORD dst_unused:UNUSED_PAD src0_sel:WORD_1 src1_sel:DWORD
	v_fma_f16 v9, v15, v9, -v10
	s_waitcnt vmcnt(18)
	v_lshrrev_b32_e32 v10, 16, v24
	v_mul_f16_sdwa v14, v17, v24 dst_sel:DWORD dst_unused:UNUSED_PAD src0_sel:WORD_1 src1_sel:DWORD
	ds_write2_b32 v45, v6, v11 offset0:154 offset1:231
	v_pack_b32_f16 v6, v8, v13
	v_fmac_f16_e32 v12, v15, v23
	v_mul_f16_sdwa v8, v17, v10 dst_sel:DWORD dst_unused:UNUSED_PAD src0_sel:WORD_1 src1_sel:DWORD
	s_waitcnt vmcnt(17)
	v_lshrrev_b32_e32 v11, 16, v25
	v_mul_f16_sdwa v13, v21, v25 dst_sel:DWORD dst_unused:UNUSED_PAD src0_sel:WORD_1 src1_sel:DWORD
	v_fma_f16 v10, v17, v10, -v14
	v_pack_b32_f16 v9, v12, v9
	v_fmac_f16_e32 v8, v17, v24
	v_mul_f16_sdwa v12, v21, v11 dst_sel:DWORD dst_unused:UNUSED_PAD src0_sel:WORD_1 src1_sel:DWORD
	v_fma_f16 v11, v21, v11, -v13
	s_waitcnt vmcnt(16)
	v_lshrrev_b32_e32 v13, 16, v26
	v_mul_f16_sdwa v14, v22, v26 dst_sel:DWORD dst_unused:UNUSED_PAD src0_sel:WORD_1 src1_sel:DWORD
	ds_write2_b32 v7, v6, v9 offset0:52 offset1:129
	v_pack_b32_f16 v6, v8, v10
	v_fmac_f16_e32 v12, v21, v25
	v_mul_f16_sdwa v7, v22, v13 dst_sel:DWORD dst_unused:UNUSED_PAD src0_sel:WORD_1 src1_sel:DWORD
	s_waitcnt vmcnt(14)
	v_lshrrev_b32_e32 v8, 16, v28
	v_mul_f16_sdwa v9, v27, v28 dst_sel:DWORD dst_unused:UNUSED_PAD src0_sel:WORD_1 src1_sel:DWORD
	v_fma_f16 v10, v22, v13, -v14
	v_pack_b32_f16 v11, v12, v11
	v_fmac_f16_e32 v7, v22, v26
	v_mul_f16_sdwa v12, v27, v8 dst_sel:DWORD dst_unused:UNUSED_PAD src0_sel:WORD_1 src1_sel:DWORD
	v_fma_f16 v8, v27, v8, -v9
	s_waitcnt vmcnt(13)
	v_lshrrev_b32_e32 v9, 16, v29
	s_waitcnt vmcnt(12)
	v_mul_f16_sdwa v13, v4, v29 dst_sel:DWORD dst_unused:UNUSED_PAD src0_sel:WORD_1 src1_sel:DWORD
	ds_write2_b32 v37, v6, v11 offset0:78 offset1:155
	v_pack_b32_f16 v6, v7, v10
	v_fmac_f16_e32 v12, v27, v28
	v_mul_f16_sdwa v7, v4, v9 dst_sel:DWORD dst_unused:UNUSED_PAD src0_sel:WORD_1 src1_sel:DWORD
	s_waitcnt vmcnt(8)
	v_lshrrev_b32_e32 v10, 16, v32
	v_fma_f16 v9, v4, v9, -v13
	v_mul_f16_sdwa v11, v5, v32 dst_sel:DWORD dst_unused:UNUSED_PAD src0_sel:WORD_1 src1_sel:DWORD
	v_pack_b32_f16 v8, v12, v8
	v_fmac_f16_e32 v7, v4, v29
	v_mul_f16_sdwa v4, v5, v10 dst_sel:DWORD dst_unused:UNUSED_PAD src0_sel:WORD_1 src1_sel:DWORD
	s_waitcnt vmcnt(7)
	v_lshrrev_b32_e32 v12, 16, v33
	v_fma_f16 v10, v5, v10, -v11
	v_mul_f16_sdwa v11, v30, v33 dst_sel:DWORD dst_unused:UNUSED_PAD src0_sel:WORD_1 src1_sel:DWORD
	v_pack_b32_f16 v7, v7, v9
	v_fmac_f16_e32 v4, v5, v32
	v_mul_f16_sdwa v5, v30, v12 dst_sel:DWORD dst_unused:UNUSED_PAD src0_sel:WORD_1 src1_sel:DWORD
	s_waitcnt vmcnt(6)
	v_lshrrev_b32_e32 v9, 16, v34
	v_mul_f16_sdwa v13, v31, v34 dst_sel:DWORD dst_unused:UNUSED_PAD src0_sel:WORD_1 src1_sel:DWORD
	v_fma_f16 v11, v30, v12, -v11
	v_pack_b32_f16 v4, v4, v10
	v_fmac_f16_e32 v5, v30, v33
	v_mul_f16_sdwa v10, v31, v9 dst_sel:DWORD dst_unused:UNUSED_PAD src0_sel:WORD_1 src1_sel:DWORD
	v_fma_f16 v9, v31, v9, -v13
	s_waitcnt vmcnt(5)
	v_lshrrev_b32_e32 v12, 16, v35
	s_waitcnt vmcnt(4)
	v_mul_f16_sdwa v13, v36, v35 dst_sel:DWORD dst_unused:UNUSED_PAD src0_sel:WORD_1 src1_sel:DWORD
	v_pack_b32_f16 v5, v5, v11
	s_waitcnt vmcnt(3)
	v_lshrrev_b32_e32 v11, 16, v0
	s_waitcnt vmcnt(2)
	v_lshrrev_b32_e32 v14, 16, v1
	v_mul_f16_sdwa v15, v36, v12 dst_sel:DWORD dst_unused:UNUSED_PAD src0_sel:WORD_1 src1_sel:DWORD
	v_fma_f16 v12, v36, v12, -v13
	s_waitcnt vmcnt(1)
	v_mul_f16_sdwa v13, v2, v0 dst_sel:DWORD dst_unused:UNUSED_PAD src0_sel:WORD_1 src1_sel:DWORD
	v_mul_f16_sdwa v17, v2, v11 dst_sel:DWORD dst_unused:UNUSED_PAD src0_sel:WORD_1 src1_sel:DWORD
	s_waitcnt vmcnt(0)
	v_mul_f16_sdwa v18, v3, v14 dst_sel:DWORD dst_unused:UNUSED_PAD src0_sel:WORD_1 src1_sel:DWORD
	v_mul_f16_sdwa v19, v3, v1 dst_sel:DWORD dst_unused:UNUSED_PAD src0_sel:WORD_1 src1_sel:DWORD
	v_fmac_f16_e32 v10, v31, v34
	v_fmac_f16_e32 v15, v36, v35
	v_fma_f16 v11, v2, v11, -v13
	v_fmac_f16_e32 v17, v2, v0
	v_fmac_f16_e32 v18, v3, v1
	v_fma_f16 v0, v3, v14, -v19
	v_pack_b32_f16 v1, v10, v9
	v_pack_b32_f16 v2, v15, v12
	;; [unrolled: 1-line block ×3, first 2 shown]
	v_add_nc_u32_e32 v9, 0x1000, v45
	v_pack_b32_f16 v0, v18, v0
	ds_write2_b32 v38, v6, v8 offset0:104 offset1:181
	ds_write2_b32 v42, v7, v4 offset0:2 offset1:79
	;; [unrolled: 1-line block ×4, first 2 shown]
	ds_write_b32 v45, v0 offset:4928
.LBB0_3:
	s_or_b32 exec_lo, exec_lo, s1
	s_waitcnt lgkmcnt(0)
	s_barrier
	buffer_gl0_inv
                                        ; implicit-def: $vgpr0
                                        ; implicit-def: $vgpr6
                                        ; implicit-def: $vgpr31
                                        ; implicit-def: $vgpr4
                                        ; implicit-def: $vgpr30
                                        ; implicit-def: $vgpr29
                                        ; implicit-def: $vgpr2
                                        ; implicit-def: $vgpr22
                                        ; implicit-def: $vgpr21
                                        ; implicit-def: $vgpr19
                                        ; implicit-def: $vgpr20
                                        ; implicit-def: $vgpr32
                                        ; implicit-def: $vgpr9
                                        ; implicit-def: $vgpr33
                                        ; implicit-def: $vgpr34
                                        ; implicit-def: $vgpr11
                                        ; implicit-def: $vgpr35
                                        ; implicit-def: $vgpr36
                                        ; implicit-def: $vgpr13
                                        ; implicit-def: $vgpr37
                                        ; implicit-def: $vgpr38
                                        ; implicit-def: $vgpr15
                                        ; implicit-def: $vgpr39
                                        ; implicit-def: $vgpr40
                                        ; implicit-def: $vgpr41
	s_and_saveexec_b32 s0, vcc_lo
	s_cbranch_execz .LBB0_5
; %bb.4:
	v_add_nc_u32_e32 v2, 0x400, v45
	v_add_nc_u32_e32 v3, 0x600, v45
	;; [unrolled: 1-line block ×3, first 2 shown]
	ds_read2_b32 v[0:1], v45 offset1:77
	ds_read2_b32 v[14:15], v45 offset0:154 offset1:231
	ds_read2_b32 v[12:13], v2 offset0:52 offset1:129
	v_add_nc_u32_e32 v2, 0xc00, v45
	ds_read2_b32 v[10:11], v3 offset0:78 offset1:155
	ds_read2_b32 v[8:9], v4 offset0:104 offset1:181
	v_add_nc_u32_e32 v3, 0x1000, v45
	ds_read2_b32 v[6:7], v2 offset0:2 offset1:79
	ds_read2_b32 v[4:5], v2 offset0:156 offset1:233
	;; [unrolled: 1-line block ×3, first 2 shown]
	ds_read_b32 v19, v45 offset:4928
	s_waitcnt lgkmcnt(8)
	v_lshrrev_b32_e32 v41, 16, v1
	s_waitcnt lgkmcnt(7)
	v_lshrrev_b32_e32 v40, 16, v14
	v_lshrrev_b32_e32 v39, 16, v15
	s_waitcnt lgkmcnt(6)
	v_lshrrev_b32_e32 v38, 16, v12
	;; [unrolled: 3-line block ×8, first 2 shown]
.LBB0_5:
	s_or_b32 exec_lo, exec_lo, s0
	v_sub_f16_e32 v47, v41, v20
	v_add_f16_e32 v63, v19, v1
	v_sub_f16_e32 v51, v40, v21
	v_add_f16_e32 v61, v3, v14
	v_sub_f16_e32 v48, v39, v22
	v_mul_f16_e32 v42, 0xb964, v47
	v_mul_f16_e32 v54, 0xbb29, v47
	;; [unrolled: 1-line block ×4, first 2 shown]
	v_add_f16_e32 v62, v2, v15
	v_fmamk_f16 v17, v63, 0x39e9, v42
	v_fmamk_f16 v18, v63, 0x3722, v54
	v_mul_f16_e32 v43, 0xba62, v48
	v_fmamk_f16 v23, v61, 0x2de8, v44
	v_sub_f16_e32 v49, v38, v29
	v_add_f16_e32 v17, v17, v0
	v_fmamk_f16 v24, v61, 0xb8d2, v53
	v_add_f16_e32 v18, v18, v0
	v_mul_f16_e32 v55, 0x31e1, v48
	v_add_f16_e32 v64, v5, v12
	v_fmamk_f16 v25, v62, 0xb8d2, v43
	v_add_f16_e32 v17, v23, v17
	v_sub_f16_e32 v50, v37, v30
	v_mul_f16_e32 v56, 0xb1e1, v49
	v_add_f16_e32 v18, v24, v18
	v_fmamk_f16 v23, v62, 0xbbdd, v55
	v_mul_f16_e32 v59, 0x3bb2, v49
	v_add_f16_e32 v17, v25, v17
	v_fmamk_f16 v24, v64, 0xbbdd, v56
	v_add_f16_e32 v68, v4, v13
	v_mul_f16_e32 v52, 0x3836, v50
	v_add_f16_e32 v18, v23, v18
	v_fmamk_f16 v23, v64, 0xb461, v59
	v_mul_f16_e32 v58, 0x3964, v50
	v_sub_f16_e32 v69, v36, v32
	v_add_f16_e32 v17, v24, v17
	v_fmamk_f16 v24, v68, 0xbacd, v52
	v_add_f16_e32 v18, v23, v18
	v_fmamk_f16 v23, v68, 0x39e9, v58
	v_add_f16_e32 v70, v7, v10
	v_mul_f16_e32 v57, 0x3bb2, v69
	v_sub_f16_e32 v73, v35, v31
	v_mul_f16_e32 v65, 0xb5c8, v69
	v_add_f16_e32 v17, v24, v17
	v_add_f16_e32 v18, v23, v18
	v_fmamk_f16 v23, v70, 0xb461, v57
	v_add_f16_e32 v72, v6, v11
	v_mul_f16_e32 v60, 0x3b29, v73
	v_fmamk_f16 v24, v70, 0x3b76, v65
	v_mul_f16_e32 v66, 0xbbf7, v73
	v_add_f16_e32 v17, v23, v17
	v_mul_f16_e32 v85, 0xbbb2, v47
	v_fmamk_f16 v23, v72, 0x3722, v60
	v_add_f16_e32 v18, v24, v18
	v_fmamk_f16 v24, v72, 0x2de8, v66
	v_mul_f16_e32 v97, 0xba62, v47
	v_mul_f16_e32 v87, 0x3836, v51
	v_add_f16_e32 v17, v23, v17
	v_mul_f16_e32 v99, 0x3bb2, v51
	v_add_f16_e32 v23, v24, v18
	v_fmamk_f16 v18, v63, 0xb461, v85
	v_fmamk_f16 v24, v63, 0xb8d2, v97
	v_sub_f16_e32 v74, v34, v33
	v_fmamk_f16 v25, v61, 0xbacd, v87
	v_fmamk_f16 v26, v61, 0xb461, v99
	v_add_f16_e32 v18, v18, v0
	v_add_f16_e32 v24, v24, v0
	v_mul_f16_e32 v88, 0x3964, v48
	v_mul_f16_e32 v100, 0xb5c8, v48
	v_add_f16_e32 v80, v9, v8
	v_mul_f16_e32 v67, 0x35c8, v74
	v_add_f16_e32 v18, v25, v18
	v_add_f16_e32 v24, v26, v24
	v_fmamk_f16 v25, v62, 0x39e9, v88
	v_fmamk_f16 v26, v62, 0x3b76, v100
	v_mul_f16_e32 v90, 0xbb29, v49
	v_mul_f16_e32 v101, 0xb836, v49
	v_fmamk_f16 v27, v80, 0x3b76, v67
	v_add_f16_e32 v25, v25, v18
	v_add_f16_e32 v24, v26, v24
	v_fmamk_f16 v26, v64, 0x3722, v90
	v_fmamk_f16 v28, v64, 0xbacd, v101
	v_mul_f16_e32 v91, 0xb1e1, v50
	v_mul_f16_e32 v95, 0x3bf7, v50
	v_add_f16_e32 v18, v27, v17
	v_add_f16_e32 v17, v26, v25
	;; [unrolled: 1-line block ×3, first 2 shown]
	v_fmamk_f16 v25, v68, 0xbbdd, v91
	v_fmamk_f16 v26, v68, 0x2de8, v95
	v_mul_f16_e32 v86, 0x3bf7, v69
	v_mul_f16_e32 v96, 0xb964, v69
	;; [unrolled: 1-line block ×3, first 2 shown]
	v_add_f16_e32 v17, v25, v17
	v_add_f16_e32 v24, v26, v24
	v_fmamk_f16 v25, v70, 0x2de8, v86
	v_fmamk_f16 v26, v70, 0x39e9, v96
	v_mul_f16_e32 v89, 0xb5c8, v73
	v_mul_f16_e32 v98, 0xb1e1, v73
	v_fmamk_f16 v27, v80, 0xbacd, v71
	v_add_f16_e32 v25, v25, v17
	v_add_f16_e32 v24, v26, v24
	v_fmamk_f16 v26, v72, 0x3b76, v89
	v_fmamk_f16 v28, v72, 0xbbdd, v98
	v_mul_f16_e32 v75, 0xb836, v47
	v_add_f16_e32 v17, v27, v23
	v_mul_f16_e32 v23, 0xb1e1, v47
	v_add_f16_e32 v25, v26, v25
	v_add_f16_e32 v24, v28, v24
	v_fma_f16 v26, v63, 0xbacd, -v75
	v_mul_f16_e32 v27, 0x3b29, v51
	v_fma_f16 v28, v63, 0xbbdd, -v23
	v_mul_f16_e32 v76, 0x35c8, v51
	v_mul_f16_e32 v92, 0xba62, v74
	v_add_f16_e32 v26, v26, v0
	v_fma_f16 v77, v61, 0x3722, -v27
	v_add_f16_e32 v28, v28, v0
	v_fma_f16 v78, v61, 0x3b76, -v76
	v_mul_f16_e32 v79, 0xbbf7, v48
	v_mul_f16_e32 v81, 0xb836, v48
	v_fmamk_f16 v82, v80, 0xb8d2, v92
	v_add_f16_e32 v77, v77, v26
	v_add_f16_e32 v28, v78, v28
	v_fma_f16 v78, v62, 0x2de8, -v79
	v_mul_f16_e32 v84, 0x3a62, v49
	v_fma_f16 v83, v62, 0xbacd, -v81
	v_add_f16_e32 v26, v82, v25
	v_mul_f16_e32 v25, 0x3964, v49
	v_add_f16_e32 v77, v78, v77
	v_fma_f16 v78, v64, 0xb8d2, -v84
	v_mul_f16_e32 v82, 0xb5c8, v50
	v_fmac_f16_e32 v75, 0xbacd, v63
	v_fmac_f16_e32 v23, 0xbbdd, v63
	v_add_f16_e32 v28, v83, v28
	v_fma_f16 v83, v64, 0x39e9, -v25
	v_mul_f16_e32 v93, 0xba62, v50
	v_add_f16_e32 v77, v78, v77
	v_fma_f16 v78, v68, 0x3b76, -v82
	v_add_f16_e32 v75, v75, v0
	v_fmac_f16_e32 v27, 0x3722, v61
	v_add_f16_e32 v23, v23, v0
	v_fmac_f16_e32 v76, 0x3b76, v61
	v_add_f16_e32 v28, v83, v28
	v_fma_f16 v83, v68, 0xb8d2, -v93
	v_add_f16_e32 v77, v78, v77
	v_mul_f16_e32 v78, 0xb1e1, v69
	v_add_f16_e32 v27, v27, v75
	v_add_f16_e32 v23, v76, v23
	v_fmac_f16_e32 v79, 0x2de8, v62
	v_fmac_f16_e32 v81, 0xbacd, v62
	v_add_f16_e32 v28, v83, v28
	v_fma_f16 v83, v70, 0xbbdd, -v78
	v_mul_f16_e32 v102, 0x3b29, v69
	v_mul_f16_e32 v103, 0x3964, v73
	v_add_f16_e32 v27, v79, v27
	v_add_f16_e32 v23, v81, v23
	v_fmac_f16_e32 v84, 0xb8d2, v64
	v_fmac_f16_e32 v25, 0x39e9, v64
	v_add_f16_e32 v75, v83, v77
	v_fma_f16 v76, v70, 0x3722, -v102
	v_fma_f16 v77, v72, 0x39e9, -v103
	v_add_f16_e32 v27, v84, v27
	v_add_f16_e32 v23, v25, v23
	v_fmac_f16_e32 v82, 0x3b76, v68
	v_fmac_f16_e32 v93, 0xb8d2, v68
	v_add_f16_e32 v28, v76, v28
	v_add_f16_e32 v75, v77, v75
	v_mul_f16_e32 v76, 0xbbb2, v73
	v_mul_f16_e32 v77, 0xbbb2, v74
	v_add_f16_e32 v27, v82, v27
	v_add_f16_e32 v23, v93, v23
	v_fmac_f16_e32 v78, 0xbbdd, v70
	v_fmac_f16_e32 v102, 0x3722, v70
	v_mul_f16_e32 v106, 0x3b29, v74
	v_fma_f16 v25, v72, 0xb461, -v76
	v_mul_f16_e32 v79, 0x3bf7, v74
	v_fma_f16 v81, v80, 0xb461, -v77
	v_add_f16_e32 v27, v78, v27
	v_add_f16_e32 v78, v102, v23
	v_fmac_f16_e32 v103, 0x39e9, v72
	v_fmac_f16_e32 v76, 0xb461, v72
	v_fmamk_f16 v94, v80, 0x3722, v106
	v_add_f16_e32 v28, v25, v28
	v_fma_f16 v82, v80, 0x2de8, -v79
	v_add_f16_e32 v23, v81, v75
	v_add_f16_e32 v27, v103, v27
	;; [unrolled: 1-line block ×3, first 2 shown]
	v_sub_f16_e32 v76, v1, v19
	v_fmac_f16_e32 v77, 0xb461, v80
	v_add_f16_e32 v25, v94, v24
	v_add_f16_e32 v24, v82, v28
	v_mul_f16_e32 v81, 0xb5c8, v47
	v_add_f16_e32 v145, v20, v41
	v_mul_f16_e32 v83, 0xb5c8, v76
	v_add_f16_e32 v28, v77, v27
	v_sub_f16_e32 v77, v14, v3
	v_fmac_f16_e32 v79, 0x2de8, v80
	v_fmamk_f16 v27, v63, 0x3b76, v81
	v_fma_f16 v78, v145, 0x3b76, -v83
	v_add_f16_e32 v133, v21, v40
	v_mul_f16_e32 v84, 0xb964, v77
	v_mul_f16_e32 v103, 0xb964, v76
	;; [unrolled: 1-line block ×3, first 2 shown]
	v_add_f16_e32 v93, v27, v0
	v_add_f16_sdwa v78, v78, v0 dst_sel:DWORD dst_unused:UNUSED_PAD src0_sel:DWORD src1_sel:WORD_1
	v_fma_f16 v102, v133, 0x39e9, -v84
	v_add_f16_e32 v27, v79, v75
	v_fma_f16 v79, v145, 0x39e9, -v103
	v_mul_f16_e32 v108, 0xbb29, v76
	v_fmamk_f16 v94, v61, 0x39e9, v82
	v_add_f16_e32 v78, v102, v78
	v_mul_f16_e32 v102, 0xbbf7, v77
	v_mul_f16_e32 v113, 0xbbf7, v47
	v_add_f16_sdwa v47, v79, v0 dst_sel:DWORD dst_unused:UNUSED_PAD src0_sel:DWORD src1_sel:WORD_1
	v_fma_f16 v79, v145, 0x3722, -v108
	v_mul_f16_e32 v110, 0xba62, v77
	v_add_f16_e32 v75, v94, v93
	v_fma_f16 v93, v133, 0x2de8, -v102
	v_fmamk_f16 v94, v63, 0x2de8, v113
	v_mul_f16_e32 v112, 0xb1e1, v51
	v_add_f16_sdwa v51, v79, v0 dst_sel:DWORD dst_unused:UNUSED_PAD src0_sel:DWORD src1_sel:WORD_1
	v_fma_f16 v79, v133, 0xb8d2, -v110
	v_mul_f16_e32 v117, 0xbbf7, v76
	v_mul_f16_e32 v131, 0xbbb2, v76
	v_add_f16_e32 v94, v94, v0
	v_fmamk_f16 v104, v61, 0xbbdd, v112
	v_add_f16_e32 v47, v93, v47
	v_add_f16_e32 v51, v79, v51
	v_fma_f16 v79, v145, 0x2de8, -v117
	v_mul_f16_e32 v118, 0xb1e1, v77
	v_fma_f16 v93, v145, 0xb461, -v131
	v_mul_f16_e32 v132, 0x3836, v77
	v_add_f16_e32 v104, v104, v94
	v_mul_f16_e32 v142, 0xba62, v76
	v_add_f16_sdwa v79, v79, v0 dst_sel:DWORD dst_unused:UNUSED_PAD src0_sel:DWORD src1_sel:WORD_1
	v_fma_f16 v94, v133, 0xbbdd, -v118
	v_add_f16_sdwa v93, v93, v0 dst_sel:DWORD dst_unused:UNUSED_PAD src0_sel:DWORD src1_sel:WORD_1
	v_fma_f16 v107, v133, 0xbacd, -v132
	v_mul_f16_e32 v109, 0xb836, v76
	v_fma_f16 v105, v145, 0xb8d2, -v142
	v_mul_f16_e32 v143, 0x3bb2, v77
	v_add_f16_e32 v79, v94, v79
	v_add_f16_e32 v107, v107, v93
	v_fmamk_f16 v93, v145, 0xbacd, v109
	v_mul_f16_e32 v94, 0x3b29, v77
	v_add_f16_sdwa v105, v105, v0 dst_sel:DWORD dst_unused:UNUSED_PAD src0_sel:DWORD src1_sel:WORD_1
	v_fma_f16 v111, v133, 0xb461, -v143
	v_mul_f16_e32 v76, 0xb1e1, v76
	v_fma_f16 v109, v145, 0xbacd, -v109
	v_add_f16_sdwa v93, v93, v0 dst_sel:DWORD dst_unused:UNUSED_PAD src0_sel:DWORD src1_sel:WORD_1
	v_fmamk_f16 v114, v133, 0x3722, v94
	v_add_f16_e32 v105, v111, v105
	v_fmamk_f16 v111, v145, 0xbbdd, v76
	v_mul_f16_e32 v77, 0x35c8, v77
	v_add_f16_sdwa v109, v109, v0 dst_sel:DWORD dst_unused:UNUSED_PAD src0_sel:DWORD src1_sel:WORD_1
	v_fma_f16 v94, v133, 0x3722, -v94
	v_add_f16_e32 v114, v114, v93
	v_fma_f16 v76, v145, 0xbbdd, -v76
	v_mul_f16_e32 v93, 0xbb29, v48
	v_sub_f16_e32 v116, v15, v2
	v_add_f16_sdwa v111, v111, v0 dst_sel:DWORD dst_unused:UNUSED_PAD src0_sel:DWORD src1_sel:WORD_1
	v_fmamk_f16 v115, v133, 0x3b76, v77
	v_add_f16_e32 v109, v94, v109
	v_add_f16_sdwa v76, v76, v0 dst_sel:DWORD dst_unused:UNUSED_PAD src0_sel:DWORD src1_sel:WORD_1
	v_fma_f16 v77, v133, 0x3b76, -v77
	v_fmamk_f16 v120, v62, 0x3722, v93
	v_add_f16_e32 v144, v22, v39
	v_mul_f16_e32 v94, 0xbb29, v116
	v_mul_f16_e32 v119, 0x31e1, v116
	v_add_f16_e32 v115, v115, v111
	v_mul_f16_e32 v111, 0xba62, v116
	v_add_f16_e32 v76, v77, v76
	v_add_f16_e32 v75, v120, v75
	v_fma_f16 v77, v144, 0x3722, -v94
	v_mul_f16_e32 v120, 0x3bb2, v48
	v_fma_f16 v48, v144, 0xbbdd, -v119
	v_mul_f16_e32 v126, 0x3bb2, v116
	v_fma_f16 v121, v144, 0xb8d2, -v111
	v_add_f16_e32 v77, v77, v78
	v_fmamk_f16 v78, v62, 0xb461, v120
	v_add_f16_e32 v48, v48, v51
	v_fma_f16 v51, v144, 0xb461, -v126
	v_mul_f16_e32 v139, 0x3964, v116
	v_mul_f16_e32 v151, 0xb5c8, v116
	v_add_f16_e32 v47, v121, v47
	v_add_f16_e32 v78, v78, v104
	v_mul_f16_e32 v104, 0xbbf7, v116
	v_add_f16_e32 v51, v51, v79
	v_fma_f16 v79, v144, 0x39e9, -v139
	v_fma_f16 v121, v144, 0x3b76, -v151
	v_mul_f16_e32 v116, 0xb836, v116
	v_fmamk_f16 v122, v144, 0x2de8, v104
	v_fma_f16 v104, v144, 0x2de8, -v104
	v_add_f16_e32 v79, v79, v107
	v_add_f16_e32 v107, v121, v105
	v_fmamk_f16 v105, v144, 0xbacd, v116
	v_sub_f16_e32 v121, v12, v5
	v_add_f16_e32 v114, v122, v114
	v_add_f16_e32 v109, v104, v109
	v_mul_f16_e32 v104, 0xbbf7, v49
	v_add_f16_e32 v115, v105, v115
	v_fma_f16 v122, v144, 0xbacd, -v116
	v_add_f16_e32 v147, v29, v38
	v_mul_f16_e32 v105, 0xbbf7, v121
	v_mul_f16_e32 v125, 0x3bb2, v121
	v_fmamk_f16 v123, v64, 0x2de8, v104
	v_mul_f16_e32 v116, 0xb1e1, v121
	v_add_f16_e32 v76, v122, v76
	v_fma_f16 v122, v147, 0x2de8, -v105
	v_mul_f16_e32 v127, 0x35c8, v49
	v_fma_f16 v49, v147, 0xb461, -v125
	v_mul_f16_e32 v135, 0x35c8, v121
	v_add_f16_e32 v75, v123, v75
	v_fma_f16 v123, v147, 0xbbdd, -v116
	v_add_f16_e32 v77, v122, v77
	v_fmamk_f16 v122, v64, 0x3b76, v127
	v_add_f16_e32 v48, v49, v48
	v_mul_f16_e32 v148, 0xbb29, v121
	v_fma_f16 v49, v147, 0x3b76, -v135
	v_mul_f16_e32 v159, 0xb836, v121
	v_add_f16_e32 v47, v123, v47
	v_add_f16_e32 v78, v122, v78
	v_mul_f16_e32 v122, 0x3a62, v121
	v_fma_f16 v123, v147, 0x3722, -v148
	v_add_f16_e32 v49, v49, v51
	v_fma_f16 v51, v147, 0xbacd, -v159
	v_mul_f16_e32 v121, 0x3964, v121
	v_fmamk_f16 v124, v147, 0xb8d2, v122
	v_add_f16_e32 v79, v123, v79
	v_fma_f16 v122, v147, 0xb8d2, -v122
	v_add_f16_e32 v51, v51, v107
	v_fmamk_f16 v123, v147, 0x39e9, v121
	v_mul_f16_e32 v107, 0xbbb2, v50
	v_sub_f16_e32 v128, v13, v4
	v_add_f16_e32 v114, v124, v114
	v_add_f16_e32 v122, v122, v109
	;; [unrolled: 1-line block ×3, first 2 shown]
	v_fma_f16 v121, v147, 0x39e9, -v121
	v_fmamk_f16 v123, v68, 0xb461, v107
	v_add_f16_e32 v152, v30, v37
	v_mul_f16_e32 v109, 0xbbb2, v128
	v_mul_f16_e32 v124, 0x3836, v128
	v_mul_f16_e32 v134, 0x3964, v128
	v_add_f16_e32 v76, v121, v76
	v_add_f16_e32 v75, v123, v75
	v_fma_f16 v121, v152, 0xb461, -v109
	v_fma_f16 v123, v152, 0xbacd, -v124
	v_mul_f16_e32 v136, 0xbb29, v50
	v_fma_f16 v129, v152, 0x39e9, -v134
	v_mul_f16_e32 v153, 0xb1e1, v128
	v_add_f16_e32 v50, v121, v77
	v_add_f16_e32 v47, v123, v47
	v_fmamk_f16 v77, v68, 0x3722, v136
	v_mul_f16_e32 v123, 0xb5c8, v128
	v_mul_f16_e32 v138, 0xbb29, v128
	v_add_f16_e32 v48, v129, v48
	v_mul_f16_e32 v164, 0x3bf7, v128
	v_add_f16_e32 v77, v77, v78
	v_fma_f16 v78, v152, 0xbbdd, -v153
	v_fmamk_f16 v129, v152, 0x3b76, v123
	v_mul_f16_e32 v128, 0xba62, v128
	v_fma_f16 v123, v152, 0x3b76, -v123
	v_fma_f16 v121, v152, 0x3722, -v138
	v_add_f16_e32 v78, v78, v79
	v_add_f16_e32 v79, v129, v114
	v_sub_f16_e32 v129, v10, v7
	v_add_f16_e32 v122, v123, v122
	v_fma_f16 v123, v152, 0xb8d2, -v128
	v_add_f16_e32 v49, v121, v49
	v_fma_f16 v121, v152, 0x2de8, -v164
	v_mul_f16_e32 v114, 0xba62, v69
	v_add_f16_e32 v156, v32, v36
	v_add_f16_e32 v76, v123, v76
	v_mul_f16_e32 v123, 0x3bb2, v129
	v_add_f16_e32 v51, v121, v51
	v_fmamk_f16 v121, v152, 0xb8d2, v128
	v_fmamk_f16 v128, v70, 0xb8d2, v114
	v_mul_f16_e32 v140, 0xb5c8, v129
	v_mul_f16_e32 v141, 0xb836, v69
	v_fma_f16 v69, v156, 0xb461, -v123
	v_mul_f16_e32 v146, 0xb836, v129
	v_add_f16_e32 v121, v121, v115
	v_mul_f16_e32 v115, 0xba62, v129
	v_add_f16_e32 v75, v128, v75
	v_fma_f16 v128, v156, 0x3b76, -v140
	v_add_f16_e32 v47, v69, v47
	v_fma_f16 v69, v156, 0xbacd, -v146
	v_mul_f16_e32 v166, 0xb964, v129
	v_fma_f16 v130, v156, 0xb8d2, -v115
	v_add_f16_e32 v48, v128, v48
	v_mul_f16_e32 v158, 0x3bf7, v129
	v_mul_f16_e32 v128, 0xb1e1, v129
	v_add_f16_e32 v49, v69, v49
	v_mul_f16_e32 v69, 0x3b29, v129
	v_fma_f16 v129, v156, 0x39e9, -v166
	v_add_f16_e32 v50, v130, v50
	v_fmamk_f16 v130, v70, 0xbacd, v141
	v_fmamk_f16 v137, v156, 0xbbdd, v128
	v_fma_f16 v128, v156, 0xbbdd, -v128
	v_add_f16_e32 v51, v129, v51
	v_sub_f16_e32 v129, v11, v6
	v_add_f16_e32 v77, v130, v77
	v_fma_f16 v130, v156, 0x2de8, -v158
	v_add_f16_e32 v79, v137, v79
	v_add_f16_e32 v137, v128, v122
	;; [unrolled: 1-line block ×3, first 2 shown]
	v_mul_f16_e32 v122, 0xb836, v129
	v_add_f16_e32 v78, v130, v78
	v_fmamk_f16 v130, v156, 0x3722, v69
	v_mul_f16_e32 v149, 0xbbf7, v129
	v_fma_f16 v69, v156, 0x3722, -v69
	v_fma_f16 v150, v161, 0xbacd, -v122
	v_mul_f16_e32 v167, 0xb1e1, v129
	v_add_f16_e32 v155, v130, v121
	v_mul_f16_e32 v121, 0xb836, v73
	v_mul_f16_e32 v130, 0x3b29, v129
	v_fma_f16 v154, v161, 0x2de8, -v149
	v_add_f16_e32 v50, v150, v50
	v_mul_f16_e32 v150, 0x3a62, v73
	v_fmamk_f16 v128, v72, 0xbacd, v121
	v_add_f16_e32 v69, v69, v76
	v_fma_f16 v76, v161, 0x3722, -v130
	v_add_f16_e32 v73, v154, v48
	v_mul_f16_e32 v154, 0x3a62, v129
	v_fmamk_f16 v48, v72, 0xb8d2, v150
	v_add_f16_e32 v75, v128, v75
	v_add_f16_e32 v47, v76, v47
	v_mul_f16_e32 v76, 0x3964, v129
	v_fma_f16 v128, v161, 0xb8d2, -v154
	v_add_f16_e32 v77, v48, v77
	v_fma_f16 v48, v161, 0xbbdd, -v167
	v_mul_f16_e32 v162, 0xb5c8, v129
	v_fmamk_f16 v160, v161, 0x39e9, v76
	v_add_f16_e32 v169, v128, v49
	v_mul_f16_e32 v49, 0xbbb2, v129
	v_add_f16_e32 v170, v48, v51
	v_fma_f16 v48, v161, 0x39e9, -v76
	v_sub_f16_e32 v76, v8, v9
	v_add_f16_e32 v163, v33, v34
	v_fmamk_f16 v51, v161, 0xb461, v49
	v_fma_f16 v49, v161, 0xb461, -v49
	v_fma_f16 v157, v161, 0x3b76, -v162
	v_mul_f16_e32 v129, 0xb1e1, v76
	v_add_f16_e32 v171, v48, v137
	v_mul_f16_e32 v137, 0x35c8, v76
	v_add_f16_e32 v173, v49, v69
	v_add_f16_e32 v78, v157, v78
	v_fma_f16 v49, v163, 0xbbdd, -v129
	v_add_f16_e32 v79, v160, v79
	v_add_f16_e32 v172, v51, v155
	v_mul_f16_e32 v155, 0xb836, v76
	v_mul_f16_e32 v157, 0x3964, v74
	v_add_f16_e32 v49, v49, v50
	v_fma_f16 v50, v163, 0x3b76, -v137
	v_mul_f16_e32 v160, 0x3964, v76
	v_mul_f16_e32 v128, 0xb1e1, v74
	v_fma_f16 v51, v163, 0xbacd, -v155
	v_fmamk_f16 v69, v80, 0x39e9, v157
	v_mul_f16_e32 v165, 0xba62, v76
	v_add_f16_e32 v50, v50, v47
	v_fma_f16 v47, v163, 0x39e9, -v160
	s_clause 0x1
	s_load_dwordx2 s[6:7], s[4:5], 0x20
	s_load_dwordx2 s[2:3], s[4:5], 0x8
	v_fmamk_f16 v48, v80, 0xbbdd, v128
	v_add_f16_e32 v51, v51, v73
	v_add_f16_e32 v73, v69, v77
	v_fma_f16 v69, v163, 0xb8d2, -v165
	v_mul_f16_e32 v168, 0x3b29, v76
	v_mul_f16_e32 v77, 0xbbb2, v76
	v_add_f16_e32 v74, v47, v169
	v_mul_f16_e32 v47, 0x3bf7, v76
	v_add_f16_e32 v48, v48, v75
	v_add_f16_e32 v75, v69, v78
	v_fma_f16 v69, v163, 0x3722, -v168
	v_fmamk_f16 v78, v163, 0xb461, v77
	v_fma_f16 v77, v163, 0xb461, -v77
	v_fmamk_f16 v169, v163, 0x2de8, v47
	v_fma_f16 v47, v163, 0x2de8, -v47
	v_add_f16_e32 v76, v69, v170
	v_add_f16_e32 v69, v78, v79
	;; [unrolled: 1-line block ×5, first 2 shown]
	v_mul_lo_u16 v47, v46, 17
	s_waitcnt lgkmcnt(0)
	s_barrier
	buffer_gl0_inv
	s_and_saveexec_b32 s0, vcc_lo
	s_cbranch_execz .LBB0_7
; %bb.6:
	v_mul_f16_e32 v178, 0xb8d2, v145
	v_mul_f16_e32 v169, 0x3b76, v63
	v_mul_f16_e32 v171, 0x39e9, v63
	v_mul_f16_e32 v173, 0x3722, v63
	v_mul_f16_e32 v175, 0x2de8, v63
	v_add_f16_e32 v142, v142, v178
	v_mul_f16_e32 v178, 0xb461, v133
	v_mul_f16_e32 v177, 0xb461, v63
	;; [unrolled: 1-line block ×4, first 2 shown]
	v_add_f16_sdwa v142, v142, v0 dst_sel:DWORD dst_unused:UNUSED_PAD src0_sel:DWORD src1_sel:WORD_1
	v_add_f16_e32 v143, v143, v178
	v_mul_f16_e32 v178, 0x3b76, v144
	v_mul_f16_e32 v181, 0x2de8, v61
	v_mul_f16_e32 v183, 0xb8d2, v61
	v_mul_f16_e32 v185, 0xbbdd, v61
	v_add_f16_e32 v142, v143, v142
	v_add_f16_e32 v143, v151, v178
	v_mul_f16_e32 v151, 0xbacd, v147
	v_mul_f16_e32 v178, 0xbacd, v61
	;; [unrolled: 1-line block ×3, first 2 shown]
	v_sub_f16_e32 v63, v63, v97
	v_add_f16_e32 v142, v143, v142
	v_add_f16_e32 v143, v159, v151
	v_mul_f16_e32 v151, 0x2de8, v152
	v_mul_f16_e32 v159, 0x3722, v62
	;; [unrolled: 1-line block ×4, first 2 shown]
	v_add_f16_e32 v142, v143, v142
	v_add_f16_e32 v143, v164, v151
	v_mul_f16_e32 v97, 0x39e9, v62
	v_sub_f16_e32 v61, v61, v99
	v_add_f16_e32 v63, v63, v0
	v_sub_f16_e32 v54, v173, v54
	v_add_f16_e32 v142, v143, v142
	v_mul_f16_e32 v143, 0xb461, v62
	v_mul_f16_e32 v62, 0x3b76, v62
	v_add_f16_e32 v61, v61, v63
	v_mul_f16_e32 v170, 0x3b76, v145
	v_mul_f16_e32 v172, 0x39e9, v145
	;; [unrolled: 1-line block ×3, first 2 shown]
	v_sub_f16_e32 v62, v62, v100
	v_mul_f16_e32 v100, 0xbacd, v64
	v_mul_f16_e32 v176, 0x2de8, v145
	;; [unrolled: 1-line block ×3, first 2 shown]
	v_add_f16_e32 v54, v54, v0
	v_add_f16_e32 v61, v62, v61
	v_sub_f16_e32 v62, v100, v101
	v_sub_f16_e32 v53, v183, v53
	v_mul_f16_e32 v180, 0x39e9, v133
	v_mul_f16_e32 v182, 0x2de8, v133
	;; [unrolled: 1-line block ×3, first 2 shown]
	v_add_f16_e32 v61, v62, v61
	v_mul_f16_e32 v62, 0x2de8, v68
	v_mul_f16_e32 v186, 0xbbdd, v133
	;; [unrolled: 1-line block ×5, first 2 shown]
	v_sub_f16_e32 v62, v62, v95
	v_mul_f16_e32 v95, 0x39e9, v70
	v_add_f16_e32 v131, v131, v145
	v_add_f16_e32 v53, v53, v54
	v_sub_f16_e32 v54, v189, v55
	v_add_f16_e32 v61, v62, v61
	v_sub_f16_e32 v95, v95, v96
	v_mul_f16_e32 v187, 0x3722, v144
	v_mul_f16_e32 v151, 0xb8d2, v144
	;; [unrolled: 1-line block ×3, first 2 shown]
	v_add_f16_e32 v164, v166, v164
	v_mul_f16_e32 v166, 0xb461, v144
	v_mul_f16_e32 v144, 0x39e9, v144
	;; [unrolled: 1-line block ×4, first 2 shown]
	v_add_f16_e32 v132, v132, v133
	v_add_f16_sdwa v131, v131, v0 dst_sel:DWORD dst_unused:UNUSED_PAD src0_sel:DWORD src1_sel:WORD_1
	v_add_f16_e32 v61, v95, v61
	v_mul_f16_e32 v95, 0x39e9, v68
	v_sub_f16_e32 v85, v177, v85
	v_mul_f16_e32 v177, 0x3722, v80
	v_add_f16_e32 v53, v54, v53
	v_sub_f16_e32 v54, v100, v59
	v_add_f16_e32 v59, v103, v172
	v_add_f16_e32 v142, v164, v142
	;; [unrolled: 1-line block ×3, first 2 shown]
	v_mul_f16_e32 v167, 0x2de8, v147
	v_add_f16_e32 v63, v168, v63
	v_mul_f16_e32 v168, 0xbbdd, v147
	v_mul_f16_e32 v101, 0xb461, v147
	;; [unrolled: 1-line block ×4, first 2 shown]
	v_add_f16_e32 v131, v132, v131
	v_mul_f16_e32 v132, 0xbbdd, v72
	v_add_f16_e32 v139, v139, v144
	v_sub_f16_e32 v106, v177, v106
	v_mul_f16_e32 v177, 0x3b76, v70
	v_sub_f16_e32 v42, v171, v42
	v_add_f16_e32 v53, v54, v53
	v_sub_f16_e32 v54, v95, v58
	v_add_f16_sdwa v58, v59, v0 dst_sel:DWORD dst_unused:UNUSED_PAD src0_sel:DWORD src1_sel:WORD_1
	v_add_f16_e32 v59, v102, v182
	v_add_f16_e32 v99, v99, v142
	v_mul_f16_e32 v62, 0xb461, v152
	v_mul_f16_e32 v144, 0xbacd, v152
	v_sub_f16_e32 v98, v132, v98
	v_mul_f16_e32 v132, 0x39e9, v152
	v_add_f16_e32 v131, v139, v131
	v_add_f16_e32 v147, v148, v147
	v_mul_f16_e32 v148, 0x3722, v152
	v_mul_f16_e32 v152, 0xbbdd, v152
	v_sub_f16_e32 v87, v178, v87
	v_add_f16_e32 v85, v85, v0
	v_add_f16_e32 v42, v42, v0
	v_sub_f16_e32 v44, v181, v44
	v_add_f16_e32 v53, v54, v53
	v_sub_f16_e32 v54, v177, v65
	v_add_f16_e32 v58, v59, v58
	v_add_f16_e32 v59, v111, v151
	v_mul_f16_e32 v164, 0x2de8, v64
	v_mul_f16_e32 v142, 0xbbdd, v64
	v_add_f16_e32 v63, v63, v99
	v_mul_f16_e32 v99, 0x3b76, v64
	v_mul_f16_e32 v64, 0x3722, v64
	v_add_f16_e32 v131, v147, v131
	v_add_f16_e32 v152, v153, v152
	;; [unrolled: 1-line block ×3, first 2 shown]
	v_mul_f16_e32 v87, 0x2de8, v156
	v_sub_f16_e32 v88, v97, v88
	v_add_f16_e32 v42, v44, v42
	v_sub_f16_e32 v43, v188, v43
	v_add_f16_e32 v44, v54, v53
	v_add_f16_e32 v54, v59, v58
	;; [unrolled: 1-line block ×3, first 2 shown]
	v_add_f16_sdwa v41, v41, v0 dst_sel:DWORD dst_unused:UNUSED_PAD src0_sel:DWORD src1_sel:WORD_1
	v_add_f16_e32 v1, v1, v0
	v_mul_f16_e32 v133, 0xb461, v68
	v_mul_f16_e32 v96, 0xbacd, v68
	;; [unrolled: 1-line block ×4, first 2 shown]
	v_add_f16_e32 v61, v98, v61
	v_mul_f16_e32 v178, 0xb461, v156
	v_add_f16_e32 v131, v152, v131
	v_add_f16_e32 v87, v158, v87
	v_add_f16_e32 v85, v88, v85
	v_sub_f16_e32 v64, v64, v90
	v_add_f16_e32 v42, v43, v42
	v_sub_f16_e32 v43, v142, v56
	v_add_f16_e32 v54, v58, v54
	v_add_f16_e32 v56, v124, v144
	;; [unrolled: 1-line block ×4, first 2 shown]
	v_mul_f16_e32 v98, 0xb8d2, v70
	v_mul_f16_e32 v153, 0xb461, v70
	;; [unrolled: 1-line block ×4, first 2 shown]
	v_add_f16_e32 v61, v106, v61
	v_mul_f16_e32 v106, 0x3722, v161
	v_add_f16_e32 v87, v87, v131
	v_mul_f16_e32 v131, 0x3b76, v161
	v_add_f16_e32 v64, v64, v85
	v_sub_f16_e32 v68, v68, v91
	v_add_f16_e32 v42, v43, v42
	v_sub_f16_e32 v43, v96, v52
	v_add_f16_e32 v52, v56, v54
	v_add_f16_e32 v54, v123, v178
	;; [unrolled: 1-line block ×4, first 2 shown]
	v_mul_f16_e32 v158, 0xbacd, v72
	v_mul_f16_e32 v90, 0x3722, v72
	;; [unrolled: 1-line block ×3, first 2 shown]
	v_add_f16_e32 v131, v162, v131
	v_mul_f16_e32 v162, 0xb8d2, v72
	v_mul_f16_e32 v72, 0x3b76, v72
	v_add_f16_e32 v64, v68, v64
	v_sub_f16_e32 v70, v70, v86
	v_add_f16_e32 v118, v118, v186
	v_mul_f16_e32 v186, 0x3b76, v163
	v_add_f16_e32 v14, v43, v42
	v_sub_f16_e32 v41, v153, v57
	v_add_f16_e32 v42, v54, v52
	v_add_f16_e32 v15, v130, v106
	v_add_f16_e32 v38, v38, v39
	v_add_f16_e32 v1, v12, v1
	v_mul_f16_e32 v68, 0xbbdd, v80
	v_mul_f16_e32 v86, 0x3b76, v80
	v_add_f16_e32 v64, v70, v64
	v_mul_f16_e32 v70, 0xbacd, v80
	v_sub_f16_e32 v72, v72, v89
	v_add_f16_e32 v126, v126, v166
	v_mul_f16_e32 v166, 0x39e9, v80
	v_mul_f16_e32 v80, 0xb8d2, v80
	v_add_f16_e32 v14, v41, v14
	v_sub_f16_e32 v40, v90, v60
	v_add_f16_e32 v12, v15, v42
	v_add_f16_e32 v15, v137, v186
	v_add_f16_e32 v37, v37, v38
	v_add_f16_e32 v1, v13, v1
	v_add_f16_e32 v117, v117, v176
	v_add_f16_e32 v64, v72, v64
	v_sub_f16_e32 v72, v80, v92
	v_add_f16_e32 v14, v40, v14
	v_sub_f16_e32 v13, v86, v67
	v_add_f16_e32 v12, v15, v12
	v_add_f16_e32 v15, v83, v170
	v_add_f16_e32 v36, v36, v37
	v_add_f16_e32 v1, v10, v1
	v_add_f16_sdwa v117, v117, v0 dst_sel:DWORD dst_unused:UNUSED_PAD src0_sel:DWORD src1_sel:WORD_1
	v_sub_f16_e32 v113, v175, v113
	v_add_f16_e32 v64, v72, v64
	v_add_f16_e32 v72, v108, v174
	;; [unrolled: 1-line block ×3, first 2 shown]
	v_sub_f16_e32 v13, v169, v81
	v_add_f16_sdwa v14, v15, v0 dst_sel:DWORD dst_unused:UNUSED_PAD src0_sel:DWORD src1_sel:WORD_1
	v_add_f16_e32 v15, v35, v36
	v_add_f16_e32 v1, v11, v1
	;; [unrolled: 1-line block ×4, first 2 shown]
	v_add_f16_sdwa v72, v72, v0 dst_sel:DWORD dst_unused:UNUSED_PAD src0_sel:DWORD src1_sel:WORD_1
	v_add_f16_e32 v0, v13, v0
	v_sub_f16_e32 v13, v179, v82
	v_add_f16_e32 v15, v34, v15
	v_add_f16_e32 v1, v8, v1
	;; [unrolled: 1-line block ×8, first 2 shown]
	v_mul_f16_e32 v147, 0xb8d2, v156
	v_mul_f16_e32 v152, 0x3b76, v156
	;; [unrolled: 1-line block ×3, first 2 shown]
	v_add_f16_e32 v80, v92, v80
	v_add_f16_e32 v92, v138, v148
	v_sub_f16_e32 v112, v185, v112
	v_add_f16_e32 v110, v110, v184
	v_sub_f16_e32 v9, v159, v93
	v_add_f16_e32 v13, v31, v13
	v_add_f16_e32 v1, v6, v1
	;; [unrolled: 1-line block ×4, first 2 shown]
	v_mul_f16_e32 v88, 0xbacd, v161
	v_mul_f16_e32 v91, 0x2de8, v161
	;; [unrolled: 1-line block ×3, first 2 shown]
	v_add_f16_e32 v80, v92, v80
	v_add_f16_e32 v92, v146, v156
	;; [unrolled: 1-line block ×3, first 2 shown]
	v_sub_f16_e32 v112, v143, v120
	v_add_f16_e32 v72, v110, v72
	v_add_f16_e32 v110, v119, v190
	;; [unrolled: 1-line block ×3, first 2 shown]
	v_sub_f16_e32 v6, v164, v104
	v_add_f16_e32 v9, v32, v13
	v_add_f16_e32 v1, v7, v1
	;; [unrolled: 1-line block ×4, first 2 shown]
	v_mul_f16_e32 v176, 0xbbdd, v163
	v_mul_f16_e32 v89, 0xbacd, v163
	;; [unrolled: 1-line block ×4, first 2 shown]
	v_add_f16_e32 v80, v92, v80
	v_add_f16_e32 v92, v154, v161
	;; [unrolled: 1-line block ×3, first 2 shown]
	v_sub_f16_e32 v99, v99, v127
	v_add_f16_e32 v72, v110, v72
	v_add_f16_e32 v101, v125, v101
	;; [unrolled: 1-line block ×3, first 2 shown]
	v_sub_f16_e32 v6, v133, v107
	v_add_f16_e32 v9, v30, v9
	v_add_f16_e32 v1, v4, v1
	;; [unrolled: 1-line block ×7, first 2 shown]
	v_sub_f16_e32 v108, v139, v136
	v_add_f16_e32 v72, v101, v72
	v_add_f16_e32 v101, v134, v132
	v_add_f16_e32 v0, v6, v0
	v_add_f16_e32 v6, v29, v9
	v_add_f16_e32 v1, v5, v1
	v_add_f16_e32 v4, v7, v8
	v_add_f16_e32 v7, v115, v147
	v_sub_f16_e32 v5, v98, v114
	v_add_f16_e32 v80, v92, v80
	v_add_f16_e32 v92, v108, v99
	v_sub_f16_e32 v97, v97, v141
	v_add_f16_e32 v72, v101, v72
	v_add_f16_e32 v99, v140, v152
	;; [unrolled: 1-line block ×7, first 2 shown]
	v_sub_f16_e32 v2, v158, v121
	v_add_f16_e32 v92, v97, v92
	v_sub_f16_e32 v97, v162, v150
	v_add_f16_e32 v72, v99, v72
	v_add_f16_e32 v91, v149, v91
	v_sub_f16_e32 v53, v85, v66
	v_add_f16_e32 v5, v21, v6
	v_add_f16_e32 v1, v3, v1
	;; [unrolled: 1-line block ×5, first 2 shown]
	v_sub_f16_e32 v2, v68, v128
	v_add_f16_e32 v55, v97, v92
	v_sub_f16_e32 v92, v166, v157
	v_add_f16_e32 v72, v91, v72
	v_add_f16_e32 v89, v155, v89
	;; [unrolled: 1-line block ×3, first 2 shown]
	v_sub_f16_e32 v53, v70, v71
	v_add_f16_e32 v87, v131, v87
	v_add_f16_e32 v118, v165, v118
	v_add_f16_sdwa v5, v20, v5 dst_sel:WORD_1 dst_unused:UNUSED_PAD src0_sel:DWORD src1_sel:DWORD
	v_add_f16_e32 v1, v19, v1
	v_mov_b32_e32 v6, 2
	v_add_f16_e32 v3, v3, v4
	v_add_f16_e32 v0, v2, v0
	;; [unrolled: 1-line block ×6, first 2 shown]
	v_or_b32_sdwa v1, v5, v1 dst_sel:DWORD dst_unused:UNUSED_PAD src0_sel:DWORD src1_sel:WORD_0
	v_lshlrev_b32_sdwa v4, v6, v47 dst_sel:DWORD dst_unused:UNUSED_PAD src0_sel:DWORD src1_sel:WORD_0
	v_pack_b32_f16 v5, v10, v12
	v_pack_b32_f16 v0, v0, v3
	;; [unrolled: 1-line block ×6, first 2 shown]
	ds_write_b32 v4, v1
	ds_write2_b32 v4, v0, v5 offset0:1 offset1:2
	ds_write2_b32 v4, v2, v3 offset0:3 offset1:4
	;; [unrolled: 1-line block ×3, first 2 shown]
	v_perm_b32 v0, v79, v24, 0x5040100
	v_perm_b32 v1, v69, v23, 0x5040100
	;; [unrolled: 1-line block ×10, first 2 shown]
	ds_write2_b32 v4, v1, v0 offset0:7 offset1:8
	ds_write2_b32 v4, v3, v2 offset0:9 offset1:10
	;; [unrolled: 1-line block ×5, first 2 shown]
.LBB0_7:
	s_or_b32 exec_lo, exec_lo, s0
	v_add_nc_u32_e32 v0, 0x500, v45
	v_add_nc_u32_e32 v1, 0xb00, v45
	s_waitcnt lgkmcnt(0)
	s_barrier
	buffer_gl0_inv
	ds_read2_b32 v[8:9], v45 offset1:187
	ds_read2_b32 v[12:13], v0 offset0:54 offset1:241
	ds_read2_b32 v[10:11], v1 offset0:44 offset1:231
	ds_read_b32 v14, v45 offset:4488
	v_cmp_gt_u16_e64 s0, 0x44, v46
	s_and_saveexec_b32 s1, s0
	s_cbranch_execz .LBB0_9
; %bb.8:
	v_add_nc_u32_e32 v0, 0x100, v45
	v_add_nc_u32_e32 v1, 0x700, v45
	v_add_nc_u32_e32 v2, 0xd00, v45
	ds_read2_b32 v[23:24], v0 offset0:55 offset1:242
	ds_read2_b32 v[27:28], v1 offset0:45 offset1:232
	;; [unrolled: 1-line block ×3, first 2 shown]
	ds_read_b32 v73, v45 offset:4964
	s_waitcnt lgkmcnt(3)
	v_lshrrev_b32_e32 v69, 16, v23
	v_lshrrev_b32_e32 v79, 16, v24
	s_waitcnt lgkmcnt(2)
	v_lshrrev_b32_e32 v78, 16, v27
	v_lshrrev_b32_e32 v77, 16, v28
	;; [unrolled: 3-line block ×3, first 2 shown]
	s_waitcnt lgkmcnt(0)
	v_lshrrev_b32_e32 v74, 16, v73
.LBB0_9:
	s_or_b32 exec_lo, exec_lo, s1
	v_and_b32_e32 v0, 0xff, v46
	v_add_nc_u16 v1, v46, 0x77
	s_waitcnt lgkmcnt(3)
	v_lshrrev_b32_e32 v31, 16, v9
	s_waitcnt lgkmcnt(2)
	v_lshrrev_b32_e32 v32, 16, v12
	v_lshrrev_b32_e32 v33, 16, v13
	v_mul_lo_u16 v0, 0xf1, v0
	v_and_b32_e32 v2, 0xff, v1
	s_waitcnt lgkmcnt(1)
	v_lshrrev_b32_e32 v34, 16, v10
	v_lshrrev_b32_e32 v35, 16, v11
	s_waitcnt lgkmcnt(0)
	v_lshrrev_b32_e32 v36, 16, v14
	v_lshrrev_b16 v29, 12, v0
	v_mul_lo_u16 v0, v29, 17
	v_sub_nc_u16 v0, v46, v0
	v_and_b32_e32 v30, 0xff, v0
	v_mul_lo_u16 v0, 0xf1, v2
	v_mul_u32_u24_e32 v2, 6, v30
	v_lshrrev_b16 v52, 12, v0
	v_lshlrev_b32_e32 v0, 2, v2
	v_mul_lo_u16 v2, v52, 17
	s_clause 0x1
	global_load_dwordx4 v[4:7], v0, s[2:3]
	global_load_dwordx2 v[21:22], v0, s[2:3] offset:16
	v_sub_nc_u16 v1, v1, v2
	v_and_b32_e32 v53, 0xff, v1
	v_mul_u32_u24_e32 v0, 6, v53
	v_lshlrev_b32_e32 v15, 2, v0
	s_clause 0x1
	global_load_dwordx4 v[0:3], v15, s[2:3]
	global_load_dwordx2 v[19:20], v15, s[2:3] offset:16
	v_mov_b32_e32 v15, 0x77
	s_load_dwordx4 s[4:7], s[6:7], 0x0
	s_waitcnt vmcnt(0) lgkmcnt(0)
	s_barrier
	buffer_gl0_inv
	v_mul_u32_u24_sdwa v29, v29, v15 dst_sel:DWORD dst_unused:UNUSED_PAD src0_sel:WORD_0 src1_sel:DWORD
	v_add_lshl_u32 v54, v29, v30, 2
	v_mul_f16_sdwa v30, v9, v4 dst_sel:DWORD dst_unused:UNUSED_PAD src0_sel:DWORD src1_sel:WORD_1
	v_mul_f16_sdwa v38, v12, v5 dst_sel:DWORD dst_unused:UNUSED_PAD src0_sel:DWORD src1_sel:WORD_1
	;; [unrolled: 1-line block ×12, first 2 shown]
	v_fmac_f16_e32 v30, v31, v4
	v_fmac_f16_e32 v38, v32, v5
	;; [unrolled: 1-line block ×5, first 2 shown]
	v_fma_f16 v9, v9, v4, -v29
	v_fma_f16 v12, v12, v5, -v37
	;; [unrolled: 1-line block ×3, first 2 shown]
	v_fmac_f16_e32 v40, v33, v6
	v_mul_f16_sdwa v34, v77, v2 dst_sel:DWORD dst_unused:UNUSED_PAD src0_sel:DWORD src1_sel:WORD_1
	v_mul_f16_sdwa v36, v76, v3 dst_sel:DWORD dst_unused:UNUSED_PAD src0_sel:DWORD src1_sel:WORD_1
	v_fma_f16 v10, v10, v7, -v41
	v_fma_f16 v11, v11, v21, -v43
	;; [unrolled: 1-line block ×3, first 2 shown]
	v_mul_f16_sdwa v29, v79, v0 dst_sel:DWORD dst_unused:UNUSED_PAD src0_sel:DWORD src1_sel:WORD_1
	v_mul_f16_sdwa v31, v24, v0 dst_sel:DWORD dst_unused:UNUSED_PAD src0_sel:DWORD src1_sel:WORD_1
	;; [unrolled: 1-line block ×10, first 2 shown]
	v_fma_f16 v28, v28, v2, -v34
	v_fma_f16 v25, v25, v3, -v36
	v_add_f16_e32 v34, v30, v56
	v_add_f16_e32 v36, v38, v44
	v_fma_f16 v24, v24, v0, -v29
	v_fmac_f16_e32 v31, v79, v0
	v_fma_f16 v27, v27, v1, -v32
	v_fmac_f16_e32 v33, v78, v1
	v_fmac_f16_e32 v35, v77, v2
	;; [unrolled: 1-line block ×3, first 2 shown]
	v_fma_f16 v26, v26, v19, -v39
	v_fmac_f16_e32 v41, v75, v19
	v_fma_f16 v29, v73, v20, -v43
	v_fmac_f16_e32 v55, v74, v20
	v_add_f16_e32 v32, v9, v14
	v_sub_f16_e32 v9, v9, v14
	v_sub_f16_e32 v14, v30, v56
	v_add_f16_e32 v30, v12, v11
	v_sub_f16_e32 v11, v12, v11
	v_sub_f16_e32 v12, v38, v44
	v_add_f16_e32 v38, v13, v10
	v_add_f16_e32 v39, v40, v42
	v_sub_f16_e32 v10, v10, v13
	v_sub_f16_e32 v13, v42, v40
	v_add_f16_e32 v42, v36, v34
	v_add_f16_e32 v40, v30, v32
	v_sub_f16_e32 v43, v30, v32
	v_sub_f16_e32 v44, v36, v34
	v_sub_f16_e32 v32, v32, v38
	v_sub_f16_e32 v34, v34, v39
	v_sub_f16_e32 v30, v38, v30
	v_sub_f16_e32 v36, v39, v36
	v_add_f16_e32 v56, v10, v11
	v_add_f16_e32 v57, v13, v12
	v_sub_f16_e32 v58, v10, v11
	v_sub_f16_e32 v59, v13, v12
	;; [unrolled: 1-line block ×4, first 2 shown]
	v_add_f16_e32 v60, v24, v29
	v_add_f16_e32 v61, v31, v55
	v_sub_f16_e32 v24, v24, v29
	v_sub_f16_e32 v29, v31, v55
	v_add_f16_e32 v31, v27, v26
	v_add_f16_e32 v55, v33, v41
	v_sub_f16_e32 v26, v27, v26
	v_sub_f16_e32 v27, v33, v41
	;; [unrolled: 4-line block ×3, first 2 shown]
	v_add_f16_e32 v37, v39, v42
	v_sub_f16_e32 v10, v9, v10
	v_sub_f16_e32 v13, v14, v13
	v_add_f16_e32 v35, v38, v40
	v_add_f16_e32 v9, v56, v9
	v_add_f16_e32 v14, v57, v14
	v_mul_f16_e32 v32, 0x3a52, v32
	v_mul_f16_e32 v34, 0x3a52, v34
	;; [unrolled: 1-line block ×8, first 2 shown]
	v_add_f16_e32 v58, v31, v60
	v_add_f16_e32 v59, v55, v61
	v_sub_f16_e32 v62, v31, v60
	v_sub_f16_e32 v63, v55, v61
	;; [unrolled: 1-line block ×5, first 2 shown]
	v_add_f16_e32 v64, v25, v26
	v_sub_f16_e32 v66, v25, v26
	v_add_f16_sdwa v70, v37, v8 dst_sel:DWORD dst_unused:UNUSED_PAD src0_sel:DWORD src1_sel:WORD_1
	v_sub_f16_e32 v55, v41, v55
	v_add_f16_e32 v65, v28, v27
	v_sub_f16_e32 v67, v28, v27
	v_sub_f16_e32 v25, v24, v25
	v_sub_f16_e32 v26, v26, v24
	v_sub_f16_e32 v27, v27, v29
	v_add_f16_e32 v68, v35, v8
	v_fmamk_f16 v30, v30, 0x2b26, v32
	v_fmamk_f16 v36, v36, 0x2b26, v34
	v_fma_f16 v38, v43, 0x39e0, -v38
	v_fma_f16 v39, v44, 0x39e0, -v39
	;; [unrolled: 1-line block ×4, first 2 shown]
	v_fmamk_f16 v43, v10, 0x3574, v40
	v_fmamk_f16 v44, v13, 0x3574, v42
	v_fma_f16 v40, v11, 0x3b00, -v40
	v_fma_f16 v42, v12, 0x3b00, -v42
	;; [unrolled: 1-line block ×4, first 2 shown]
	v_add_f16_e32 v33, v33, v58
	v_add_f16_e32 v41, v41, v59
	;; [unrolled: 1-line block ×3, first 2 shown]
	v_mul_f16_e32 v10, 0x3a52, v60
	v_mul_f16_e32 v11, 0x3a52, v61
	;; [unrolled: 1-line block ×4, first 2 shown]
	v_lshlrev_b32_e32 v64, 16, v70
	v_sub_f16_e32 v28, v29, v28
	v_mul_f16_e32 v13, 0x2b26, v55
	v_mul_f16_e32 v59, 0xb846, v67
	;; [unrolled: 1-line block ×4, first 2 shown]
	v_fmac_f16_e32 v70, 0xbcab, v37
	v_fmac_f16_e32 v43, 0x370e, v9
	;; [unrolled: 1-line block ×7, first 2 shown]
	v_add_f16_e32 v8, v23, v33
	v_add_f16_e32 v9, v69, v41
	v_fmamk_f16 v31, v31, 0x2b26, v10
	v_fmamk_f16 v37, v55, 0x2b26, v11
	v_fma_f16 v55, v62, 0x39e0, -v12
	v_fma_f16 v62, v62, 0xb9e0, -v10
	v_fmamk_f16 v10, v25, 0x3574, v58
	v_fma_f16 v14, v26, 0x3b00, -v58
	v_or_b32_sdwa v58, v64, v68 dst_sel:DWORD dst_unused:UNUSED_PAD src0_sel:DWORD src1_sel:WORD_0
	v_fmac_f16_e32 v68, 0xbcab, v35
	v_add_f16_e32 v29, v65, v29
	v_fma_f16 v65, v63, 0x39e0, -v13
	v_fma_f16 v63, v63, 0xb9e0, -v11
	v_fmamk_f16 v11, v28, 0x3574, v59
	v_fma_f16 v12, v27, 0x3b00, -v59
	v_fma_f16 v23, v25, 0xb574, -v60
	;; [unrolled: 1-line block ×3, first 2 shown]
	v_add_f16_e32 v25, v36, v70
	v_add_f16_e32 v27, v34, v70
	v_fmamk_f16 v28, v33, 0xbcab, v8
	v_fmamk_f16 v33, v41, 0xbcab, v9
	v_add_f16_e32 v34, v30, v68
	v_add_f16_e32 v26, v39, v70
	;; [unrolled: 1-line block ×4, first 2 shown]
	v_fmac_f16_e32 v10, 0x370e, v24
	v_fmac_f16_e32 v11, 0x370e, v29
	;; [unrolled: 1-line block ×6, first 2 shown]
	v_sub_f16_e32 v38, v25, v43
	v_sub_f16_e32 v39, v27, v56
	v_add_f16_e32 v59, v56, v27
	v_add_f16_e32 v24, v31, v28
	;; [unrolled: 1-line block ×10, first 2 shown]
	v_sub_f16_e32 v60, v35, v42
	v_sub_f16_e32 v40, v26, v40
	v_add_f16_e32 v35, v42, v35
	v_sub_f16_e32 v36, v36, v57
	v_add_f16_e32 v43, v43, v25
	;; [unrolled: 2-line block ×3, first 2 shown]
	v_sub_f16_e32 v56, v31, v14
	v_sub_f16_e32 v25, v30, v13
	v_add_f16_e32 v55, v23, v32
	v_sub_f16_e32 v26, v24, v11
	v_pack_b32_f16 v33, v33, v38
	v_add_f16_e32 v57, v10, v29
	v_pack_b32_f16 v37, v37, v39
	v_pack_b32_f16 v38, v60, v41
	;; [unrolled: 1-line block ×5, first 2 shown]
	ds_write2_b32 v54, v58, v33 offset1:17
	ds_write2_b32 v54, v37, v38 offset0:34 offset1:51
	ds_write2_b32 v54, v35, v36 offset0:68 offset1:85
	ds_write_b32 v54, v34 offset:408
	s_and_saveexec_b32 s1, s0
	s_cbranch_execz .LBB0_11
; %bb.10:
	v_mul_u32_u24_sdwa v15, v52, v15 dst_sel:DWORD dst_unused:UNUSED_PAD src0_sel:WORD_0 src1_sel:DWORD
	v_sub_f16_e32 v10, v29, v10
	v_add_f16_e32 v11, v11, v24
	v_add_f16_e32 v14, v14, v31
	v_sub_f16_e32 v23, v32, v23
	v_add_f16_e32 v13, v13, v30
	v_sub_f16_e32 v12, v27, v12
	v_add_lshl_u32 v15, v15, v53, 2
	v_perm_b32 v8, v9, v8, 0x5040100
	v_pack_b32_f16 v9, v11, v10
	v_pack_b32_f16 v10, v13, v23
	;; [unrolled: 1-line block ×3, first 2 shown]
	v_perm_b32 v12, v56, v28, 0x5040100
	v_perm_b32 v13, v55, v25, 0x5040100
	;; [unrolled: 1-line block ×3, first 2 shown]
	ds_write2_b32 v15, v8, v9 offset1:17
	ds_write2_b32 v15, v10, v11 offset0:34 offset1:51
	ds_write2_b32 v15, v12, v13 offset0:68 offset1:85
	ds_write_b32 v15, v14 offset:408
.LBB0_11:
	s_or_b32 exec_lo, exec_lo, s1
	v_mad_u64_u32 v[23:24], null, v46, 40, s[2:3]
	s_waitcnt lgkmcnt(0)
	s_barrier
	buffer_gl0_inv
	v_add_nc_u32_e32 v39, 0x400, v45
	v_add_nc_u32_e32 v40, 0x800, v45
	;; [unrolled: 1-line block ×3, first 2 shown]
	s_clause 0x2
	global_load_dwordx4 v[12:15], v[23:24], off offset:408
	global_load_dwordx4 v[8:11], v[23:24], off offset:424
	global_load_dwordx2 v[23:24], v[23:24], off offset:440
	ds_read2_b32 v[29:30], v45 offset0:119 offset1:238
	v_add_nc_u32_e32 v42, 0x1000, v45
	ds_read2_b32 v[31:32], v39 offset0:101 offset1:220
	ds_read2_b32 v[33:34], v40 offset0:83 offset1:202
	;; [unrolled: 1-line block ×4, first 2 shown]
	ds_read_b32 v27, v45
	v_add_nc_u32_e32 v43, 0x200, v45
	v_add_nc_u32_e32 v69, 0x600, v45
	;; [unrolled: 1-line block ×4, first 2 shown]
	s_waitcnt lgkmcnt(5)
	v_lshrrev_b32_e32 v58, 16, v29
	v_lshrrev_b32_e32 v59, 16, v30
	s_waitcnt lgkmcnt(4)
	v_lshrrev_b32_e32 v60, 16, v31
	s_waitcnt lgkmcnt(1)
	v_lshrrev_b32_e32 v66, 16, v37
	v_lshrrev_b32_e32 v67, 16, v38
	;; [unrolled: 1-line block ×7, first 2 shown]
	s_waitcnt vmcnt(2)
	v_mul_f16_sdwa v70, v58, v12 dst_sel:DWORD dst_unused:UNUSED_PAD src0_sel:DWORD src1_sel:WORD_1
	v_mul_f16_sdwa v71, v29, v12 dst_sel:DWORD dst_unused:UNUSED_PAD src0_sel:DWORD src1_sel:WORD_1
	v_mul_f16_sdwa v72, v59, v13 dst_sel:DWORD dst_unused:UNUSED_PAD src0_sel:DWORD src1_sel:WORD_1
	v_mul_f16_sdwa v73, v30, v13 dst_sel:DWORD dst_unused:UNUSED_PAD src0_sel:DWORD src1_sel:WORD_1
	s_waitcnt vmcnt(0)
	v_mul_f16_sdwa v86, v66, v23 dst_sel:DWORD dst_unused:UNUSED_PAD src0_sel:DWORD src1_sel:WORD_1
	v_mul_f16_sdwa v88, v67, v24 dst_sel:DWORD dst_unused:UNUSED_PAD src0_sel:DWORD src1_sel:WORD_1
	;; [unrolled: 1-line block ×3, first 2 shown]
	v_fma_f16 v29, v29, v12, -v70
	v_fmac_f16_e32 v71, v58, v12
	v_mul_f16_sdwa v74, v60, v14 dst_sel:DWORD dst_unused:UNUSED_PAD src0_sel:DWORD src1_sel:WORD_1
	v_mul_f16_sdwa v75, v31, v14 dst_sel:DWORD dst_unused:UNUSED_PAD src0_sel:DWORD src1_sel:WORD_1
	v_mul_f16_sdwa v76, v61, v15 dst_sel:DWORD dst_unused:UNUSED_PAD src0_sel:DWORD src1_sel:WORD_1
	v_mul_f16_sdwa v77, v32, v15 dst_sel:DWORD dst_unused:UNUSED_PAD src0_sel:DWORD src1_sel:WORD_1
	v_mul_f16_sdwa v78, v62, v8 dst_sel:DWORD dst_unused:UNUSED_PAD src0_sel:DWORD src1_sel:WORD_1
	v_mul_f16_sdwa v79, v33, v8 dst_sel:DWORD dst_unused:UNUSED_PAD src0_sel:DWORD src1_sel:WORD_1
	v_mul_f16_sdwa v80, v63, v9 dst_sel:DWORD dst_unused:UNUSED_PAD src0_sel:DWORD src1_sel:WORD_1
	v_mul_f16_sdwa v81, v34, v9 dst_sel:DWORD dst_unused:UNUSED_PAD src0_sel:DWORD src1_sel:WORD_1
	v_mul_f16_sdwa v82, v64, v10 dst_sel:DWORD dst_unused:UNUSED_PAD src0_sel:DWORD src1_sel:WORD_1
	v_mul_f16_sdwa v83, v35, v10 dst_sel:DWORD dst_unused:UNUSED_PAD src0_sel:DWORD src1_sel:WORD_1
	v_mul_f16_sdwa v84, v65, v11 dst_sel:DWORD dst_unused:UNUSED_PAD src0_sel:DWORD src1_sel:WORD_1
	v_mul_f16_sdwa v85, v36, v11 dst_sel:DWORD dst_unused:UNUSED_PAD src0_sel:DWORD src1_sel:WORD_1
	v_mul_f16_sdwa v87, v37, v23 dst_sel:DWORD dst_unused:UNUSED_PAD src0_sel:DWORD src1_sel:WORD_1
	v_fma_f16 v30, v30, v13, -v72
	v_fmac_f16_e32 v73, v59, v13
	v_fma_f16 v70, v37, v23, -v86
	v_fma_f16 v72, v38, v24, -v88
	v_fmac_f16_e32 v89, v67, v24
	s_waitcnt lgkmcnt(0)
	v_add_f16_e32 v37, v29, v27
	v_add_f16_sdwa v38, v71, v27 dst_sel:DWORD dst_unused:UNUSED_PAD src0_sel:DWORD src1_sel:WORD_1
	v_fma_f16 v31, v31, v14, -v74
	v_fmac_f16_e32 v75, v60, v14
	v_fma_f16 v32, v32, v15, -v76
	v_fmac_f16_e32 v77, v61, v15
	;; [unrolled: 2-line block ×6, first 2 shown]
	v_fmac_f16_e32 v87, v66, v23
	v_add_f16_e32 v58, v29, v72
	v_sub_f16_e32 v29, v29, v72
	v_sub_f16_e32 v60, v71, v89
	v_add_f16_e32 v61, v30, v70
	v_sub_f16_e32 v63, v30, v70
	v_add_f16_e32 v30, v37, v30
	v_add_f16_e32 v37, v38, v73
	;; [unrolled: 1-line block ×4, first 2 shown]
	v_sub_f16_e32 v64, v73, v87
	v_add_f16_e32 v65, v31, v36
	v_sub_f16_e32 v67, v31, v36
	v_sub_f16_e32 v71, v75, v85
	v_sub_f16_e32 v78, v32, v35
	v_sub_f16_e32 v80, v77, v83
	v_sub_f16_e32 v86, v33, v34
	v_sub_f16_e32 v88, v79, v81
	v_mul_f16_e32 v38, 0xb853, v60
	v_mul_f16_e32 v73, 0xb853, v29
	;; [unrolled: 1-line block ×10, first 2 shown]
	v_add_f16_e32 v30, v30, v31
	v_add_f16_e32 v31, v37, v75
	v_add_f16_e32 v66, v75, v85
	v_add_f16_e32 v74, v32, v35
	v_add_f16_e32 v76, v77, v83
	v_add_f16_e32 v82, v33, v34
	v_add_f16_e32 v84, v79, v81
	v_mul_f16_e32 v96, 0xbb47, v64
	v_mul_f16_e32 v97, 0xbb47, v63
	;; [unrolled: 1-line block ×40, first 2 shown]
	v_fma_f16 v37, v58, 0x3abb, -v38
	v_fmamk_f16 v75, v59, 0x3abb, v73
	v_fmac_f16_e32 v38, 0x3abb, v58
	v_fma_f16 v73, v59, 0x3abb, -v73
	v_fma_f16 v128, v58, 0x36a6, -v90
	v_fmamk_f16 v129, v59, 0x36a6, v91
	v_fmac_f16_e32 v90, 0x36a6, v58
	v_fma_f16 v91, v59, 0x36a6, -v91
	;; [unrolled: 4-line block ×5, first 2 shown]
	v_add_f16_e32 v30, v30, v32
	v_add_f16_e32 v31, v31, v77
	v_fma_f16 v58, v61, 0x36a6, -v96
	v_fmamk_f16 v59, v62, 0x36a6, v97
	v_fmac_f16_e32 v96, 0x36a6, v61
	v_fma_f16 v97, v62, 0x36a6, -v97
	v_fma_f16 v136, v61, 0xb93d, -v98
	v_fmamk_f16 v137, v62, 0xb93d, v99
	v_fmac_f16_e32 v98, 0xb93d, v61
	v_fma_f16 v99, v62, 0xb93d, -v99
	;; [unrolled: 4-line block ×20, first 2 shown]
	v_add_f16_e32 v32, v37, v27
	v_add_f16_sdwa v37, v75, v27 dst_sel:DWORD dst_unused:UNUSED_PAD src0_sel:DWORD src1_sel:WORD_1
	v_add_f16_e32 v38, v38, v27
	v_add_f16_sdwa v73, v73, v27 dst_sel:DWORD dst_unused:UNUSED_PAD src0_sel:DWORD src1_sel:WORD_1
	;; [unrolled: 2-line block ×10, first 2 shown]
	v_add_f16_e32 v29, v30, v33
	v_add_f16_e32 v30, v31, v79
	;; [unrolled: 1-line block ×81, first 2 shown]
	v_add_f16_sdwa v70, v70, v89 dst_sel:WORD_1 dst_unused:UNUSED_PAD src0_sel:DWORD src1_sel:DWORD
	v_add_f16_e32 v58, v121, v34
	v_add_f16_e32 v66, v161, v37
	;; [unrolled: 1-line block ×10, first 2 shown]
	v_pack_b32_f16 v71, v30, v67
	v_pack_b32_f16 v75, v35, v64
	;; [unrolled: 1-line block ×3, first 2 shown]
	v_or_b32_sdwa v29, v70, v29 dst_sel:DWORD dst_unused:UNUSED_PAD src0_sel:DWORD src1_sel:WORD_0
	v_pack_b32_f16 v73, v33, v66
	v_pack_b32_f16 v74, v34, v65
	;; [unrolled: 1-line block ×7, first 2 shown]
	ds_write_b32 v45, v71 offset:476
	ds_write2_b32 v43, v73, v74 offset0:110 offset1:229
	ds_write2_b32 v69, v75, v76 offset0:92 offset1:211
	;; [unrolled: 1-line block ×4, first 2 shown]
	ds_write_b32 v45, v80 offset:4760
	ds_write_b32 v45, v29
	s_waitcnt lgkmcnt(0)
	s_barrier
	buffer_gl0_inv
	s_and_saveexec_b32 s2, vcc_lo
	s_cbranch_execz .LBB0_13
; %bb.12:
	v_add_co_u32 v73, s1, s8, v45
	v_add_co_ci_u32_e64 v74, null, s9, 0, s1
	v_add_co_u32 v69, s1, 0x1000, v73
	v_add_co_ci_u32_e64 v70, s1, 0, v74, s1
	global_load_dword v75, v[69:70], off offset:1140
	v_add_co_u32 v69, s1, 0x1474, v73
	v_add_co_ci_u32_e64 v70, s1, 0, v74, s1
	v_add_co_u32 v71, s1, 0x1800, v73
	v_add_co_ci_u32_e64 v72, s1, 0, v74, s1
	s_clause 0x6
	global_load_dword v85, v[69:70], off offset:308
	global_load_dword v86, v[69:70], off offset:616
	;; [unrolled: 1-line block ×7, first 2 shown]
	v_add_co_u32 v69, s1, 0x2000, v73
	v_add_co_ci_u32_e64 v70, s1, 0, v74, s1
	s_clause 0x8
	global_load_dword v92, v[71:72], off offset:1556
	global_load_dword v93, v[71:72], off offset:1864
	;; [unrolled: 1-line block ×9, first 2 shown]
	ds_read_b32 v69, v45
	s_waitcnt lgkmcnt(0)
	v_lshrrev_b32_e32 v70, 16, v69
	s_waitcnt vmcnt(16)
	v_mul_f16_sdwa v71, v70, v75 dst_sel:DWORD dst_unused:UNUSED_PAD src0_sel:DWORD src1_sel:WORD_1
	v_mul_f16_sdwa v72, v69, v75 dst_sel:DWORD dst_unused:UNUSED_PAD src0_sel:DWORD src1_sel:WORD_1
	v_fma_f16 v69, v69, v75, -v71
	v_fmac_f16_e32 v72, v70, v75
	v_pack_b32_f16 v69, v69, v72
	ds_write_b32 v45, v69
	ds_read2_b32 v[69:70], v45 offset0:77 offset1:154
	ds_read2_b32 v[71:72], v43 offset0:103 offset1:180
	ds_read2_b32 v[73:74], v39 offset0:129 offset1:206
	ds_read2_b32 v[75:76], v40 offset0:27 offset1:104
	ds_read2_b32 v[77:78], v44 offset0:53 offset1:130
	ds_read2_b32 v[79:80], v41 offset0:79 offset1:156
	ds_read2_b32 v[81:82], v68 offset0:105 offset1:182
	ds_read2_b32 v[83:84], v42 offset0:131 offset1:208
	s_waitcnt lgkmcnt(7)
	v_lshrrev_b32_e32 v101, 16, v69
	s_waitcnt vmcnt(15)
	v_mul_f16_sdwa v102, v69, v85 dst_sel:DWORD dst_unused:UNUSED_PAD src0_sel:DWORD src1_sel:WORD_1
	v_lshrrev_b32_e32 v103, 16, v70
	s_waitcnt vmcnt(14)
	v_mul_f16_sdwa v104, v70, v86 dst_sel:DWORD dst_unused:UNUSED_PAD src0_sel:DWORD src1_sel:WORD_1
	s_waitcnt lgkmcnt(6)
	v_lshrrev_b32_e32 v105, 16, v71
	s_waitcnt vmcnt(13)
	v_mul_f16_sdwa v106, v71, v87 dst_sel:DWORD dst_unused:UNUSED_PAD src0_sel:DWORD src1_sel:WORD_1
	v_lshrrev_b32_e32 v107, 16, v72
	s_waitcnt vmcnt(12)
	v_mul_f16_sdwa v108, v72, v88 dst_sel:DWORD dst_unused:UNUSED_PAD src0_sel:DWORD src1_sel:WORD_1
	;; [unrolled: 7-line block ×3, first 2 shown]
	s_waitcnt lgkmcnt(4)
	v_lshrrev_b32_e32 v113, 16, v75
	v_mul_f16_sdwa v114, v75, v90 dst_sel:DWORD dst_unused:UNUSED_PAD src0_sel:DWORD src1_sel:WORD_1
	v_lshrrev_b32_e32 v115, 16, v76
	s_waitcnt vmcnt(8)
	v_mul_f16_sdwa v116, v76, v92 dst_sel:DWORD dst_unused:UNUSED_PAD src0_sel:DWORD src1_sel:WORD_1
	s_waitcnt lgkmcnt(3)
	v_lshrrev_b32_e32 v117, 16, v77
	s_waitcnt vmcnt(7)
	v_mul_f16_sdwa v118, v77, v93 dst_sel:DWORD dst_unused:UNUSED_PAD src0_sel:DWORD src1_sel:WORD_1
	v_lshrrev_b32_e32 v119, 16, v78
	s_waitcnt vmcnt(6)
	v_mul_f16_sdwa v120, v78, v94 dst_sel:DWORD dst_unused:UNUSED_PAD src0_sel:DWORD src1_sel:WORD_1
	s_waitcnt lgkmcnt(2)
	v_lshrrev_b32_e32 v121, 16, v79
	s_waitcnt vmcnt(5)
	;; [unrolled: 7-line block ×4, first 2 shown]
	v_mul_f16_sdwa v130, v83, v99 dst_sel:DWORD dst_unused:UNUSED_PAD src0_sel:DWORD src1_sel:WORD_1
	v_lshrrev_b32_e32 v131, 16, v84
	v_mul_f16_sdwa v133, v101, v85 dst_sel:DWORD dst_unused:UNUSED_PAD src0_sel:DWORD src1_sel:WORD_1
	v_fmac_f16_e32 v102, v101, v85
	v_mul_f16_sdwa v101, v103, v86 dst_sel:DWORD dst_unused:UNUSED_PAD src0_sel:DWORD src1_sel:WORD_1
	v_fmac_f16_e32 v104, v103, v86
	v_mul_f16_sdwa v103, v105, v87 dst_sel:DWORD dst_unused:UNUSED_PAD src0_sel:DWORD src1_sel:WORD_1
	v_fmac_f16_e32 v106, v105, v87
	v_mul_f16_sdwa v105, v107, v88 dst_sel:DWORD dst_unused:UNUSED_PAD src0_sel:DWORD src1_sel:WORD_1
	v_fmac_f16_e32 v108, v107, v88
	v_mul_f16_sdwa v107, v109, v89 dst_sel:DWORD dst_unused:UNUSED_PAD src0_sel:DWORD src1_sel:WORD_1
	v_fmac_f16_e32 v110, v109, v89
	v_mul_f16_sdwa v109, v111, v91 dst_sel:DWORD dst_unused:UNUSED_PAD src0_sel:DWORD src1_sel:WORD_1
	v_fmac_f16_e32 v112, v111, v91
	v_mul_f16_sdwa v111, v113, v90 dst_sel:DWORD dst_unused:UNUSED_PAD src0_sel:DWORD src1_sel:WORD_1
	v_fmac_f16_e32 v114, v113, v90
	v_mul_f16_sdwa v113, v115, v92 dst_sel:DWORD dst_unused:UNUSED_PAD src0_sel:DWORD src1_sel:WORD_1
	v_fmac_f16_e32 v116, v115, v92
	v_mul_f16_sdwa v115, v117, v93 dst_sel:DWORD dst_unused:UNUSED_PAD src0_sel:DWORD src1_sel:WORD_1
	v_fmac_f16_e32 v118, v117, v93
	v_mul_f16_sdwa v117, v119, v94 dst_sel:DWORD dst_unused:UNUSED_PAD src0_sel:DWORD src1_sel:WORD_1
	s_waitcnt vmcnt(0)
	v_mul_f16_sdwa v132, v84, v100 dst_sel:DWORD dst_unused:UNUSED_PAD src0_sel:DWORD src1_sel:WORD_1
	v_fmac_f16_e32 v120, v119, v94
	v_mul_f16_sdwa v119, v121, v95 dst_sel:DWORD dst_unused:UNUSED_PAD src0_sel:DWORD src1_sel:WORD_1
	v_fmac_f16_e32 v122, v121, v95
	;; [unrolled: 2-line block ×6, first 2 shown]
	v_mul_f16_sdwa v129, v131, v100 dst_sel:DWORD dst_unused:UNUSED_PAD src0_sel:DWORD src1_sel:WORD_1
	v_fma_f16 v69, v69, v85, -v133
	v_fma_f16 v70, v70, v86, -v101
	;; [unrolled: 1-line block ×10, first 2 shown]
	v_fmac_f16_e32 v132, v131, v100
	v_fma_f16 v79, v79, v95, -v119
	v_fma_f16 v80, v80, v96, -v121
	;; [unrolled: 1-line block ×6, first 2 shown]
	v_pack_b32_f16 v69, v69, v102
	v_pack_b32_f16 v70, v70, v104
	;; [unrolled: 1-line block ×16, first 2 shown]
	ds_write2_b32 v45, v69, v70 offset0:77 offset1:154
	ds_write2_b32 v43, v71, v72 offset0:103 offset1:180
	;; [unrolled: 1-line block ×8, first 2 shown]
.LBB0_13:
	s_or_b32 exec_lo, exec_lo, s2
	s_waitcnt lgkmcnt(0)
	s_barrier
	buffer_gl0_inv
	s_and_saveexec_b32 s1, vcc_lo
	s_cbranch_execz .LBB0_15
; %bb.14:
	v_add_nc_u32_e32 v17, 0x400, v45
	v_add_nc_u32_e32 v18, 0x600, v45
	;; [unrolled: 1-line block ×3, first 2 shown]
	ds_read2_b32 v[29:30], v45 offset1:77
	ds_read2_b32 v[33:34], v45 offset0:154 offset1:231
	ds_read2_b32 v[35:36], v17 offset0:52 offset1:129
	v_add_nc_u32_e32 v17, 0xc00, v45
	ds_read2_b32 v[37:38], v18 offset0:78 offset1:155
	ds_read2_b32 v[31:32], v25 offset0:104 offset1:181
	v_add_nc_u32_e32 v18, 0x1000, v45
	ds_read2_b32 v[27:28], v17 offset0:2 offset1:79
	ds_read2_b32 v[25:26], v17 offset0:156 offset1:233
	;; [unrolled: 1-line block ×3, first 2 shown]
	ds_read_b32 v48, v45 offset:4928
	s_waitcnt lgkmcnt(8)
	v_lshrrev_b32_e32 v67, 16, v30
	s_waitcnt lgkmcnt(7)
	v_lshrrev_b32_e32 v66, 16, v33
	v_lshrrev_b32_e32 v65, 16, v34
	s_waitcnt lgkmcnt(6)
	v_lshrrev_b32_e32 v64, 16, v35
	;; [unrolled: 3-line block ×8, first 2 shown]
.LBB0_15:
	s_or_b32 exec_lo, exec_lo, s1
	v_add_f16_e32 v87, v49, v67
	v_sub_f16_e32 v69, v30, v48
	v_sub_f16_e32 v84, v67, v49
	v_add_f16_e32 v68, v48, v30
	v_sub_f16_e32 v88, v66, v50
	v_mul_f16_e32 v114, 0xb8d2, v87
	v_mul_f16_e32 v72, 0xbacd, v87
	;; [unrolled: 1-line block ×5, first 2 shown]
	v_fmamk_f16 v70, v69, 0xba62, v114
	v_mul_f16_e32 v103, 0xb1e1, v88
	v_mul_f16_e32 v102, 0x2de8, v87
	v_fma_f16 v39, v68, 0x2de8, -v99
	v_mul_f16_e32 v112, 0xba62, v84
	v_add_f16_sdwa v73, v70, v29 dst_sel:DWORD dst_unused:UNUSED_PAD src0_sel:DWORD src1_sel:WORD_1
	v_fmamk_f16 v70, v69, 0x3836, v72
	v_fma_f16 v41, v68, 0xb461, -v104
	v_add_f16_e32 v39, v39, v29
	v_fmac_f16_e32 v72, 0xb836, v69
	v_add_f16_e32 v91, v50, v66
	v_add_f16_sdwa v76, v70, v29 dst_sel:DWORD dst_unused:UNUSED_PAD src0_sel:DWORD src1_sel:WORD_1
	v_fmamk_f16 v70, v68, 0xbbdd, v74
	v_mul_f16_e32 v113, 0x3836, v88
	v_mul_f16_e32 v107, 0xb461, v87
	v_fmamk_f16 v40, v69, 0xbbf7, v102
	v_mul_f16_e32 v42, 0xb836, v84
	v_add_f16_e32 v79, v70, v29
	v_add_f16_e32 v70, v18, v33
	v_add_f16_e32 v41, v41, v29
	v_fma_f16 v44, v68, 0xb8d2, -v112
	v_add_f16_sdwa v78, v72, v29 dst_sel:DWORD dst_unused:UNUSED_PAD src0_sel:DWORD src1_sel:WORD_1
	v_sub_f16_e32 v72, v33, v18
	v_fma_f16 v80, v70, 0xbbdd, -v103
	v_mul_f16_e32 v108, 0xbbdd, v91
	v_mul_f16_e32 v120, 0x3bb2, v88
	v_add_f16_sdwa v40, v40, v29 dst_sel:DWORD dst_unused:UNUSED_PAD src0_sel:DWORD src1_sel:WORD_1
	v_fmamk_f16 v43, v69, 0xbbb2, v107
	v_add_f16_e32 v39, v80, v39
	v_fma_f16 v80, v70, 0xbacd, -v113
	v_fmamk_f16 v71, v68, 0xbacd, v42
	v_add_f16_e32 v44, v44, v29
	v_fma_f16 v42, v68, 0xbacd, -v42
	v_fmamk_f16 v81, v72, 0xb1e1, v108
	v_mul_f16_e32 v115, 0xbacd, v91
	v_add_f16_e32 v41, v80, v41
	v_fma_f16 v80, v70, 0xb461, -v120
	v_mul_f16_e32 v82, 0x3b29, v88
	v_add_f16_sdwa v43, v43, v29 dst_sel:DWORD dst_unused:UNUSED_PAD src0_sel:DWORD src1_sel:WORD_1
	v_add_f16_e32 v71, v71, v29
	v_mul_f16_e32 v75, 0xbbdd, v87
	v_add_f16_e32 v42, v42, v29
	v_add_f16_e32 v40, v81, v40
	v_mul_f16_e32 v124, 0xb461, v91
	v_fmamk_f16 v81, v72, 0x3836, v115
	v_add_f16_e32 v44, v80, v44
	v_fmamk_f16 v80, v70, 0x3722, v82
	v_mul_f16_e32 v85, 0x35c8, v88
	v_fma_f16 v82, v70, 0x3722, -v82
	v_fmamk_f16 v77, v69, 0x31e1, v75
	v_fmamk_f16 v83, v72, 0x3bb2, v124
	v_add_f16_e32 v43, v81, v43
	v_mul_f16_e32 v81, 0x3722, v91
	v_add_f16_e32 v71, v80, v71
	v_fmamk_f16 v80, v70, 0x3b76, v85
	v_add_f16_e32 v42, v82, v42
	v_mul_f16_e32 v82, 0x3b76, v91
	v_add_f16_sdwa v77, v77, v29 dst_sel:DWORD dst_unused:UNUSED_PAD src0_sel:DWORD src1_sel:WORD_1
	v_fma_f16 v74, v68, 0xbbdd, -v74
	v_add_f16_e32 v83, v83, v73
	v_fmamk_f16 v73, v72, 0xbb29, v81
	v_add_f16_e32 v79, v80, v79
	v_sub_f16_e32 v92, v65, v51
	v_add_f16_e32 v95, v51, v65
	v_fmamk_f16 v80, v72, 0xb5c8, v82
	v_fmac_f16_e32 v75, 0xb1e1, v69
	v_add_f16_e32 v74, v74, v29
	v_add_f16_e32 v86, v73, v76
	v_add_f16_e32 v73, v17, v34
	v_sub_f16_e32 v76, v34, v17
	v_mul_f16_e32 v116, 0xb461, v95
	v_add_f16_e32 v77, v80, v77
	v_fma_f16 v80, v70, 0x3b76, -v85
	v_mul_f16_e32 v121, 0x3964, v92
	v_add_f16_sdwa v75, v75, v29 dst_sel:DWORD dst_unused:UNUSED_PAD src0_sel:DWORD src1_sel:WORD_1
	v_fmac_f16_e32 v81, 0x3b29, v72
	v_mul_f16_e32 v110, 0x3bb2, v92
	v_fmac_f16_e32 v82, 0x35c8, v72
	v_fmamk_f16 v85, v76, 0x3bb2, v116
	v_add_f16_e32 v74, v80, v74
	v_fma_f16 v80, v73, 0x39e9, -v121
	v_mul_f16_e32 v122, 0x39e9, v95
	v_mul_f16_e32 v128, 0xb5c8, v92
	v_mul_f16_e32 v131, 0x3b76, v95
	v_add_f16_e32 v78, v81, v78
	v_fma_f16 v81, v73, 0xb461, -v110
	v_add_f16_e32 v75, v82, v75
	v_add_f16_e32 v40, v85, v40
	;; [unrolled: 1-line block ×3, first 2 shown]
	v_fmamk_f16 v80, v76, 0x3964, v122
	v_fma_f16 v82, v73, 0x3b76, -v128
	v_fmamk_f16 v85, v76, 0xb5c8, v131
	v_mul_f16_e32 v90, 0x2de8, v95
	v_add_f16_e32 v39, v81, v39
	v_mul_f16_e32 v81, 0xbbf7, v92
	v_add_f16_e32 v43, v80, v43
	v_add_f16_e32 v44, v82, v44
	;; [unrolled: 1-line block ×3, first 2 shown]
	v_fmamk_f16 v82, v76, 0x3bf7, v90
	v_mul_f16_e32 v83, 0xb836, v92
	v_fmamk_f16 v89, v73, 0x2de8, v81
	v_mul_f16_e32 v85, 0xbacd, v95
	v_fma_f16 v81, v73, 0x2de8, -v81
	v_add_f16_e32 v86, v82, v86
	v_fmamk_f16 v82, v73, 0xbacd, v83
	v_sub_f16_e32 v96, v64, v57
	v_add_f16_e32 v100, v57, v64
	v_add_f16_e32 v71, v89, v71
	v_fmamk_f16 v89, v76, 0x3836, v85
	v_add_f16_e32 v42, v81, v42
	v_add_f16_e32 v79, v82, v79
	;; [unrolled: 1-line block ×3, first 2 shown]
	v_mul_f16_e32 v117, 0x35c8, v96
	v_fma_f16 v81, v73, 0xbacd, -v83
	v_fmac_f16_e32 v85, 0xb836, v76
	v_sub_f16_e32 v83, v35, v26
	v_mul_f16_e32 v125, 0x3b76, v100
	v_mul_f16_e32 v127, 0xbb29, v96
	v_add_f16_e32 v77, v89, v77
	v_fma_f16 v89, v82, 0x3b76, -v117
	v_add_f16_e32 v74, v81, v74
	v_add_f16_e32 v75, v85, v75
	v_fmamk_f16 v81, v83, 0x35c8, v125
	v_mul_f16_e32 v129, 0x3722, v100
	v_fma_f16 v85, v82, 0x3722, -v127
	v_mul_f16_e32 v134, 0xb836, v96
	v_fmac_f16_e32 v90, 0xbbf7, v76
	v_add_f16_e32 v39, v89, v39
	v_add_f16_e32 v40, v81, v40
	v_mul_f16_e32 v135, 0xbacd, v100
	v_fmamk_f16 v81, v83, 0xbb29, v129
	v_add_f16_e32 v41, v85, v41
	v_fma_f16 v85, v82, 0xbacd, -v134
	v_mul_f16_e32 v89, 0x3a62, v96
	v_add_f16_e32 v78, v90, v78
	v_fmamk_f16 v90, v83, 0xb836, v135
	v_add_f16_e32 v43, v81, v43
	v_mul_f16_e32 v81, 0xb8d2, v100
	v_add_f16_e32 v44, v85, v44
	v_fmamk_f16 v85, v82, 0xb8d2, v89
	v_fma_f16 v89, v82, 0xb8d2, -v89
	v_add_f16_e32 v80, v90, v80
	v_mul_f16_e32 v90, 0x3964, v96
	v_fmamk_f16 v93, v83, 0xba62, v81
	v_fmac_f16_e32 v81, 0x3a62, v83
	v_add_f16_e32 v42, v89, v42
	v_mul_f16_e32 v89, 0x39e9, v100
	v_add_f16_e32 v71, v85, v71
	v_fmamk_f16 v85, v82, 0x39e9, v90
	v_add_f16_e32 v78, v81, v78
	v_sub_f16_e32 v101, v63, v55
	v_fmamk_f16 v81, v83, 0xb964, v89
	v_add_f16_e32 v105, v55, v63
	v_add_f16_e32 v79, v85, v79
	;; [unrolled: 1-line block ×3, first 2 shown]
	v_mul_f16_e32 v126, 0xbb29, v101
	v_add_f16_e32 v77, v81, v77
	v_fma_f16 v81, v82, 0x39e9, -v90
	v_mul_f16_e32 v133, 0xb1e1, v101
	v_add_f16_e32 v93, v93, v86
	v_sub_f16_e32 v86, v36, v25
	v_mul_f16_e32 v130, 0x3722, v105
	v_fma_f16 v90, v85, 0x3722, -v126
	v_add_f16_e32 v74, v81, v74
	v_fma_f16 v81, v85, 0xbbdd, -v133
	v_mul_f16_e32 v136, 0xbbdd, v105
	v_mul_f16_e32 v140, 0x3bf7, v101
	v_fmac_f16_e32 v89, 0x3964, v83
	v_fmamk_f16 v94, v86, 0xbb29, v130
	v_add_f16_e32 v39, v90, v39
	v_mul_f16_e32 v143, 0x2de8, v105
	v_add_f16_e32 v41, v81, v41
	v_fmamk_f16 v81, v86, 0xb1e1, v136
	v_fma_f16 v90, v85, 0x2de8, -v140
	v_mul_f16_e32 v98, 0x3b76, v105
	v_add_f16_e32 v75, v89, v75
	v_add_f16_e32 v40, v94, v40
	v_mul_f16_e32 v89, 0xb5c8, v101
	v_fmamk_f16 v94, v86, 0x3bf7, v143
	v_add_f16_e32 v43, v81, v43
	v_add_f16_e32 v44, v90, v44
	v_fmamk_f16 v81, v86, 0x35c8, v98
	v_mul_f16_e32 v90, 0xba62, v101
	v_fmamk_f16 v97, v85, 0x3b76, v89
	v_add_f16_e32 v80, v94, v80
	v_mul_f16_e32 v94, 0xb8d2, v105
	v_fma_f16 v89, v85, 0x3b76, -v89
	v_add_f16_e32 v81, v81, v93
	v_fmamk_f16 v93, v85, 0xb8d2, v90
	v_sub_f16_e32 v106, v62, v56
	v_add_f16_e32 v111, v56, v62
	v_add_f16_e32 v71, v97, v71
	v_fmamk_f16 v97, v86, 0x3a62, v94
	v_add_f16_e32 v42, v89, v42
	v_add_f16_e32 v79, v93, v79
	;; [unrolled: 1-line block ×3, first 2 shown]
	v_mul_f16_e32 v132, 0xb836, v106
	v_fma_f16 v93, v85, 0xb8d2, -v90
	v_fmac_f16_e32 v94, 0xba62, v86
	v_sub_f16_e32 v90, v37, v28
	v_mul_f16_e32 v137, 0xbacd, v111
	v_mul_f16_e32 v139, 0x3bf7, v106
	v_fmac_f16_e32 v98, 0xb5c8, v86
	v_add_f16_e32 v77, v97, v77
	v_fma_f16 v97, v89, 0xbacd, -v132
	v_add_f16_e32 v74, v93, v74
	v_add_f16_e32 v75, v94, v75
	v_fmamk_f16 v93, v90, 0xb836, v137
	v_mul_f16_e32 v141, 0x2de8, v111
	v_fma_f16 v94, v89, 0x2de8, -v139
	v_mul_f16_e32 v146, 0xb964, v106
	v_mul_f16_e32 v149, 0x39e9, v111
	v_add_f16_e32 v78, v98, v78
	v_add_f16_e32 v39, v97, v39
	;; [unrolled: 1-line block ×3, first 2 shown]
	v_fmamk_f16 v93, v90, 0x3bf7, v141
	v_add_f16_e32 v41, v94, v41
	v_fma_f16 v94, v89, 0x39e9, -v146
	v_mul_f16_e32 v97, 0xb1e1, v106
	v_fmamk_f16 v98, v90, 0xb964, v149
	v_add_f16_e32 v43, v93, v43
	v_mul_f16_e32 v93, 0xbbdd, v111
	v_add_f16_e32 v44, v94, v44
	v_fmamk_f16 v94, v89, 0xbbdd, v97
	v_add_f16_e32 v80, v98, v80
	v_mul_f16_e32 v98, 0x3b29, v106
	v_fmamk_f16 v109, v90, 0x31e1, v93
	v_fma_f16 v97, v89, 0xbbdd, -v97
	v_add_f16_e32 v71, v94, v71
	v_add_f16_e32 v119, v58, v61
	v_fmamk_f16 v94, v89, 0x3722, v98
	v_fmac_f16_e32 v93, 0xb1e1, v90
	v_add_f16_e32 v81, v109, v81
	v_add_f16_e32 v42, v97, v42
	v_mul_f16_e32 v97, 0x3722, v111
	v_add_f16_e32 v79, v94, v79
	v_sub_f16_e32 v109, v61, v58
	v_sub_f16_e32 v94, v38, v27
	v_mul_f16_e32 v142, 0xb8d2, v119
	v_add_f16_e32 v78, v93, v78
	v_fmamk_f16 v118, v90, 0xbb29, v97
	v_add_f16_e32 v93, v27, v38
	v_fmac_f16_e32 v97, 0x3b29, v90
	v_fmamk_f16 v123, v94, 0x3a62, v142
	v_mul_f16_e32 v145, 0xb5c8, v109
	v_mul_f16_e32 v138, 0x3a62, v109
	v_fma_f16 v98, v89, 0x3722, -v98
	v_add_f16_e32 v75, v97, v75
	v_add_f16_e32 v154, v123, v40
	v_fma_f16 v40, v93, 0x3b76, -v145
	v_mul_f16_e32 v148, 0x3b76, v119
	v_mul_f16_e32 v150, 0xb1e1, v109
	;; [unrolled: 1-line block ×3, first 2 shown]
	v_add_f16_e32 v77, v118, v77
	v_fma_f16 v118, v93, 0xb8d2, -v138
	v_add_f16_e32 v74, v98, v74
	v_mul_f16_e32 v153, 0xbbdd, v119
	v_add_f16_e32 v41, v40, v41
	v_fmamk_f16 v40, v94, 0xb5c8, v148
	v_fma_f16 v98, v93, 0xbbdd, -v150
	v_fmamk_f16 v123, v93, 0x39e9, v97
	v_mul_f16_e32 v144, 0x39e9, v119
	v_mul_f16_e32 v152, 0xb461, v119
	v_add_f16_e32 v39, v118, v39
	v_fmamk_f16 v118, v94, 0xb1e1, v153
	v_add_f16_e32 v43, v40, v43
	v_add_f16_e32 v44, v98, v44
	;; [unrolled: 1-line block ×3, first 2 shown]
	v_fmamk_f16 v40, v94, 0xb964, v144
	v_mul_f16_e32 v98, 0xbbb2, v109
	v_fmamk_f16 v123, v94, 0x3bb2, v152
	v_add_f16_e32 v80, v118, v80
	v_fma_f16 v97, v93, 0x39e9, -v97
	v_fmac_f16_e32 v144, 0x3964, v94
	v_add_f16_e32 v81, v40, v81
	v_fmamk_f16 v40, v93, 0xb461, v98
	v_sub_f16_e32 v118, v60, v59
	v_add_f16_e32 v159, v123, v77
	v_add_f16_e32 v123, v59, v60
	;; [unrolled: 1-line block ×6, first 2 shown]
	v_mul_f16_e32 v144, 0x3964, v118
	v_fma_f16 v40, v93, 0xb461, -v98
	v_sub_f16_e32 v98, v31, v32
	v_mul_f16_e32 v147, 0x39e9, v123
	v_fmac_f16_e32 v152, 0xbbb2, v94
	v_fma_f16 v42, v97, 0x39e9, -v144
	v_mul_f16_e32 v151, 0xba62, v118
	v_add_f16_e32 v160, v40, v74
	v_fmamk_f16 v74, v98, 0x3964, v147
	v_add_f16_e32 v161, v152, v75
	v_add_f16_e32 v40, v42, v39
	v_fma_f16 v39, v97, 0xb8d2, -v151
	v_mul_f16_e32 v152, 0xb8d2, v123
	v_add_f16_e32 v78, v74, v154
	v_mul_f16_e32 v154, 0x3b29, v118
	v_mul_f16_e32 v155, 0x3722, v123
	v_add_f16_e32 v39, v39, v41
	v_fmamk_f16 v41, v98, 0xba62, v152
	v_mul_f16_e32 v74, 0xbbb2, v118
	v_fma_f16 v42, v97, 0x3722, -v154
	v_fmamk_f16 v75, v98, 0x3b29, v155
	v_mul_f16_e32 v79, 0xb461, v123
	v_add_f16_e32 v77, v41, v43
	v_fmamk_f16 v41, v97, 0xb461, v74
	v_add_f16_e32 v42, v42, v44
	v_add_f16_e32 v75, v75, v80
	v_fmamk_f16 v43, v98, 0x3bb2, v79
	v_fma_f16 v44, v97, 0xb461, -v74
	v_mul_f16_e32 v80, 0x3bf7, v118
	v_mul_f16_e32 v162, 0x2de8, v123
	v_add_f16_e32 v71, v41, v71
	v_add_f16_e32 v74, v43, v81
	;; [unrolled: 1-line block ×3, first 2 shown]
	v_fmac_f16_e32 v79, 0xbbb2, v98
	v_fmamk_f16 v43, v97, 0x2de8, v80
	v_fmamk_f16 v44, v98, 0xbbf7, v162
	v_fma_f16 v80, v97, 0x2de8, -v80
	v_fmac_f16_e32 v162, 0x3bf7, v98
	v_add_f16_e32 v79, v79, v157
	v_add_f16_e32 v43, v43, v158
	v_add_f16_e32 v81, v44, v159
	v_add_f16_e32 v44, v80, v160
	v_add_f16_e32 v80, v162, v161
	s_barrier
	buffer_gl0_inv
	s_and_saveexec_b32 s1, vcc_lo
	s_cbranch_execz .LBB0_17
; %bb.16:
	v_mul_f16_e32 v161, 0xba62, v69
	v_mul_f16_e32 v167, 0x3bb2, v72
	;; [unrolled: 1-line block ×5, first 2 shown]
	v_sub_f16_e32 v114, v114, v161
	v_sub_f16_e32 v124, v124, v167
	v_mul_f16_e32 v179, 0xb836, v83
	v_add_f16_e32 v112, v160, v112
	v_mul_f16_e32 v172, 0x3b76, v73
	v_add_f16_sdwa v114, v114, v29 dst_sel:DWORD dst_unused:UNUSED_PAD src0_sel:DWORD src1_sel:WORD_1
	v_mul_f16_e32 v185, 0x3bf7, v86
	v_add_f16_e32 v120, v166, v120
	v_add_f16_e32 v112, v112, v29
	v_mul_f16_e32 v178, 0xbacd, v82
	v_add_f16_e32 v114, v124, v114
	v_sub_f16_e32 v124, v131, v173
	v_mul_f16_e32 v189, 0xb964, v90
	v_add_f16_e32 v112, v120, v112
	v_add_f16_e32 v120, v172, v128
	v_mul_f16_e32 v159, 0xbbb2, v69
	v_add_f16_e32 v114, v124, v114
	v_sub_f16_e32 v124, v135, v179
	v_mul_f16_e32 v184, 0x2de8, v85
	v_mul_f16_e32 v135, 0xb1e1, v94
	v_add_f16_e32 v112, v120, v112
	v_add_f16_e32 v120, v178, v134
	;; [unrolled: 1-line block ×3, first 2 shown]
	v_sub_f16_e32 v124, v143, v185
	v_mul_f16_e32 v158, 0xb461, v68
	v_mul_f16_e32 v165, 0x3836, v72
	;; [unrolled: 1-line block ×4, first 2 shown]
	v_add_f16_e32 v114, v124, v114
	v_sub_f16_e32 v124, v149, v189
	v_sub_f16_e32 v107, v107, v159
	v_add_f16_e32 v112, v120, v112
	v_add_f16_e32 v120, v184, v140
	v_mul_f16_e32 v164, 0xbacd, v70
	v_add_f16_e32 v114, v124, v114
	v_sub_f16_e32 v124, v153, v135
	v_mul_f16_e32 v171, 0x3964, v76
	v_mul_f16_e32 v192, 0xbbdd, v93
	v_sub_f16_e32 v115, v115, v165
	v_add_f16_e32 v112, v120, v112
	v_add_f16_e32 v114, v124, v114
	v_sub_f16_e32 v124, v155, v134
	v_add_f16_sdwa v134, v107, v29 dst_sel:DWORD dst_unused:UNUSED_PAD src0_sel:DWORD src1_sel:WORD_1
	v_add_f16_e32 v120, v167, v146
	v_add_f16_e32 v104, v158, v104
	v_mul_f16_e32 v170, 0x39e9, v73
	v_mul_f16_e32 v177, 0xbb29, v83
	;; [unrolled: 1-line block ×3, first 2 shown]
	v_add_f16_e32 v107, v124, v114
	v_add_f16_e32 v114, v115, v134
	v_sub_f16_e32 v115, v122, v171
	v_add_f16_e32 v112, v120, v112
	v_add_f16_e32 v120, v192, v150
	;; [unrolled: 1-line block ×4, first 2 shown]
	v_mul_f16_e32 v157, 0xbbf7, v69
	v_mul_f16_e32 v176, 0x3722, v82
	;; [unrolled: 1-line block ×3, first 2 shown]
	v_add_f16_e32 v114, v115, v114
	v_sub_f16_e32 v115, v129, v177
	v_add_f16_e32 v112, v120, v112
	v_add_f16_e32 v120, v149, v154
	;; [unrolled: 1-line block ×4, first 2 shown]
	v_mul_f16_e32 v163, 0xb1e1, v72
	v_mul_f16_e32 v182, 0xbbdd, v85
	;; [unrolled: 1-line block ×3, first 2 shown]
	v_add_f16_e32 v114, v115, v114
	v_sub_f16_e32 v115, v136, v183
	v_add_f16_e32 v104, v120, v112
	v_sub_f16_e32 v102, v102, v157
	v_add_f16_e32 v112, v121, v113
	v_add_f16_e32 v113, v176, v127
	v_mul_f16_e32 v169, 0x3bb2, v76
	v_mul_f16_e32 v187, 0x2de8, v89
	;; [unrolled: 1-line block ×3, first 2 shown]
	v_add_f16_e32 v114, v115, v114
	v_sub_f16_e32 v115, v141, v188
	v_add_f16_sdwa v102, v102, v29 dst_sel:DWORD dst_unused:UNUSED_PAD src0_sel:DWORD src1_sel:WORD_1
	v_sub_f16_e32 v108, v108, v163
	v_add_f16_e32 v112, v113, v112
	v_add_f16_e32 v113, v182, v133
	v_mul_f16_e32 v156, 0x2de8, v68
	v_mul_f16_e32 v175, 0x35c8, v83
	;; [unrolled: 1-line block ×4, first 2 shown]
	v_add_f16_e32 v114, v115, v114
	v_sub_f16_e32 v115, v148, v173
	v_add_f16_e32 v102, v108, v102
	v_sub_f16_e32 v108, v116, v169
	v_add_f16_e32 v112, v113, v112
	v_add_f16_e32 v113, v187, v139
	v_mul_f16_e32 v162, 0xbbdd, v70
	v_mul_f16_e32 v181, 0xbb29, v86
	;; [unrolled: 1-line block ×3, first 2 shown]
	v_add_f16_e32 v114, v115, v114
	v_sub_f16_e32 v115, v152, v128
	v_add_f16_e32 v108, v108, v102
	v_sub_f16_e32 v116, v125, v175
	v_add_f16_e32 v112, v113, v112
	v_add_f16_e32 v113, v131, v145
	;; [unrolled: 1-line block ×3, first 2 shown]
	v_mul_f16_e32 v168, 0xb461, v73
	v_mul_f16_e32 v186, 0xb836, v90
	v_add_f16_e32 v102, v115, v114
	v_add_f16_e32 v108, v116, v108
	v_sub_f16_e32 v114, v130, v181
	v_add_f16_e32 v112, v113, v112
	v_add_f16_e32 v113, v166, v151
	;; [unrolled: 1-line block ×4, first 2 shown]
	v_mul_f16_e32 v174, 0x3b76, v82
	v_mul_f16_e32 v191, 0x3a62, v94
	v_add_f16_e32 v108, v114, v108
	v_sub_f16_e32 v114, v137, v186
	v_add_f16_e32 v99, v113, v112
	v_mul_f16_e32 v112, 0x3722, v87
	v_add_f16_e32 v103, v103, v115
	v_add_f16_e32 v110, v168, v110
	v_mul_f16_e32 v180, 0x3722, v85
	v_add_f16_e32 v108, v114, v108
	v_sub_f16_e32 v113, v142, v191
	v_fmamk_f16 v114, v69, 0x3b29, v112
	v_mul_f16_e32 v115, 0xb8d2, v91
	v_add_f16_e32 v103, v110, v103
	v_add_f16_e32 v110, v174, v117
	v_mul_f16_e32 v161, 0xbacd, v89
	v_mul_f16_e32 v143, 0x3964, v98
	v_add_f16_e32 v108, v113, v108
	v_add_f16_sdwa v113, v114, v29 dst_sel:DWORD dst_unused:UNUSED_PAD src0_sel:DWORD src1_sel:WORD_1
	v_fmamk_f16 v114, v72, 0x3a62, v115
	v_mul_f16_e32 v116, 0xbbdd, v95
	v_add_f16_e32 v103, v110, v103
	v_add_f16_e32 v110, v180, v126
	v_mul_f16_e32 v190, 0xb8d2, v93
	v_sub_f16_e32 v117, v147, v143
	v_add_f16_e32 v113, v114, v113
	v_fmamk_f16 v114, v76, 0xb1e1, v116
	v_mul_f16_e32 v120, 0xb461, v100
	v_add_f16_e32 v103, v110, v103
	v_add_f16_e32 v110, v161, v132
	;; [unrolled: 1-line block ×4, first 2 shown]
	v_fmamk_f16 v114, v83, 0xbbb2, v120
	v_mul_f16_e32 v117, 0x39e9, v105
	v_add_f16_e32 v103, v110, v103
	v_add_f16_e32 v110, v190, v138
	v_mul_f16_e32 v121, 0xbb29, v84
	v_add_f16_e32 v113, v114, v113
	v_fmamk_f16 v114, v86, 0xb964, v117
	v_mul_f16_e32 v122, 0x3b76, v111
	v_add_f16_e32 v103, v110, v103
	v_fmamk_f16 v110, v68, 0x3722, v121
	v_mul_f16_e32 v124, 0xba62, v88
	v_mul_f16_e32 v160, 0x39e9, v97
	v_add_f16_e32 v113, v114, v113
	v_fmamk_f16 v114, v90, 0x35c8, v122
	v_mul_f16_e32 v125, 0x2de8, v119
	v_add_f16_e32 v110, v110, v29
	v_fmamk_f16 v126, v70, 0xb8d2, v124
	v_mul_f16_e32 v127, 0x31e1, v92
	v_add_f16_e32 v128, v160, v144
	v_add_f16_e32 v113, v114, v113
	v_fmamk_f16 v114, v94, 0x3bf7, v125
	v_add_f16_e32 v110, v126, v110
	v_fmamk_f16 v126, v73, 0xbbdd, v127
	v_mul_f16_e32 v129, 0x3bb2, v96
	v_add_f16_e32 v103, v128, v103
	v_add_f16_e32 v113, v114, v113
	v_mul_f16_e32 v114, 0x39e9, v87
	v_add_f16_e32 v110, v126, v110
	v_fmamk_f16 v126, v82, 0xb461, v129
	v_mul_f16_e32 v128, 0x3964, v101
	v_mul_f16_e32 v132, 0x2de8, v91
	v_fmamk_f16 v131, v69, 0x3964, v114
	v_mul_f16_e32 v133, 0xb5c8, v106
	v_add_f16_e32 v110, v126, v110
	v_fmamk_f16 v126, v85, 0x39e9, v128
	v_fmamk_f16 v134, v72, 0x3bf7, v132
	v_add_f16_sdwa v131, v131, v29 dst_sel:DWORD dst_unused:UNUSED_PAD src0_sel:DWORD src1_sel:WORD_1
	v_mul_f16_e32 v135, 0xb8d2, v95
	v_mul_f16_e32 v136, 0xbbf7, v109
	v_add_f16_e32 v110, v126, v110
	v_fmamk_f16 v126, v89, 0x3b76, v133
	v_mul_f16_e32 v130, 0xbacd, v123
	v_add_f16_e32 v131, v134, v131
	v_fmamk_f16 v134, v76, 0x3a62, v135
	;; [unrolled: 3-line block ×3, first 2 shown]
	v_fmamk_f16 v138, v98, 0x3836, v130
	v_add_f16_e32 v131, v134, v131
	v_fmamk_f16 v134, v83, 0x31e1, v137
	v_mul_f16_e32 v139, 0xbacd, v105
	v_add_f16_e32 v110, v126, v110
	v_mul_f16_e32 v126, 0xb964, v84
	v_add_f16_e32 v113, v138, v113
	v_add_f16_e32 v131, v134, v131
	v_fmamk_f16 v134, v86, 0xb836, v139
	v_mul_f16_e32 v138, 0xb461, v111
	v_fmamk_f16 v141, v68, 0x39e9, v126
	v_mul_f16_e32 v142, 0xbbf7, v88
	v_mul_f16_e32 v143, 0x3722, v119
	v_add_f16_e32 v131, v134, v131
	v_fmamk_f16 v134, v90, 0xbbb2, v138
	v_add_f16_e32 v141, v141, v29
	v_fmamk_f16 v144, v70, 0x2de8, v142
	v_mul_f16_e32 v145, 0xba62, v92
	v_mul_f16_e32 v147, 0xb1e1, v96
	v_add_f16_e32 v131, v134, v131
	v_fmamk_f16 v134, v94, 0xbb29, v143
	v_add_f16_e32 v141, v144, v141
	v_fmamk_f16 v144, v73, 0xb8d2, v145
	v_mul_f16_e32 v87, 0x3b76, v87
	v_mul_f16_e32 v140, 0xb836, v118
	v_add_f16_e32 v131, v134, v131
	v_mul_f16_e32 v91, 0x39e9, v91
	v_add_f16_e32 v134, v144, v141
	v_fmamk_f16 v141, v82, 0xbbdd, v147
	v_mul_f16_e32 v144, 0x3836, v101
	v_fmamk_f16 v148, v69, 0x35c8, v87
	v_fmamk_f16 v146, v97, 0xbacd, v140
	v_mul_f16_e32 v149, 0x3bb2, v106
	v_add_f16_e32 v134, v141, v134
	v_fmamk_f16 v141, v85, 0xbacd, v144
	v_add_f16_sdwa v148, v148, v29 dst_sel:DWORD dst_unused:UNUSED_PAD src0_sel:DWORD src1_sel:WORD_1
	v_fmamk_f16 v150, v72, 0x3964, v91
	v_mul_f16_e32 v95, 0x3722, v95
	v_add_f16_e32 v110, v146, v110
	v_mul_f16_e32 v146, 0x3b76, v123
	v_add_f16_e32 v134, v141, v134
	v_fmamk_f16 v141, v89, 0xb461, v149
	v_mul_f16_e32 v151, 0x3b29, v109
	v_add_f16_e32 v148, v150, v148
	v_fmamk_f16 v150, v76, 0x3b29, v95
	v_mul_f16_e32 v100, 0x2de8, v100
	v_fmamk_f16 v152, v98, 0xb5c8, v146
	v_add_f16_e32 v134, v141, v134
	v_fmamk_f16 v141, v93, 0x3722, v151
	v_add_f16_e32 v148, v150, v148
	v_fmamk_f16 v150, v83, 0x3bf7, v100
	v_mul_f16_e32 v105, 0xb461, v105
	v_mul_f16_e32 v84, 0xb5c8, v84
	v_add_f16_e32 v131, v152, v131
	v_add_f16_e32 v134, v141, v134
	;; [unrolled: 1-line block ×3, first 2 shown]
	v_fmamk_f16 v148, v86, 0x3bb2, v105
	v_mul_f16_e32 v111, 0xb8d2, v111
	v_fmamk_f16 v152, v68, 0x3b76, v84
	v_mul_f16_e32 v88, 0xb964, v88
	v_mul_f16_e32 v119, 0xbacd, v119
	v_add_f16_e32 v141, v148, v141
	v_fmamk_f16 v148, v90, 0x3a62, v111
	v_add_f16_e32 v152, v152, v29
	v_fmamk_f16 v153, v70, 0x39e9, v88
	v_mul_f16_e32 v92, 0xbb29, v92
	v_fmac_f16_e32 v112, 0xbb29, v69
	v_add_f16_e32 v141, v148, v141
	v_fmamk_f16 v148, v94, 0x3836, v119
	v_add_f16_e32 v152, v153, v152
	v_fmamk_f16 v153, v73, 0x3722, v92
	v_mul_f16_e32 v96, 0xbbf7, v96
	v_add_f16_sdwa v112, v112, v29 dst_sel:DWORD dst_unused:UNUSED_PAD src0_sel:DWORD src1_sel:WORD_1
	v_fmac_f16_e32 v115, 0xba62, v72
	v_add_f16_e32 v141, v148, v141
	v_add_f16_e32 v148, v153, v152
	v_fmamk_f16 v152, v82, 0x2de8, v96
	v_mul_f16_e32 v101, 0xbbb2, v101
	v_add_f16_e32 v112, v115, v112
	v_fmac_f16_e32 v116, 0x31e1, v76
	v_fma_f16 v121, v68, 0x3722, -v121
	v_add_f16_e32 v148, v152, v148
	v_fmamk_f16 v152, v85, 0xb461, v101
	v_mul_f16_e32 v106, 0xba62, v106
	v_add_f16_e32 v112, v116, v112
	v_fmac_f16_e32 v120, 0x3bb2, v83
	v_add_f16_e32 v116, v121, v29
	v_fma_f16 v121, v70, 0xb8d2, -v124
	v_add_f16_e32 v148, v152, v148
	v_fmamk_f16 v152, v89, 0xb8d2, v106
	v_mul_f16_e32 v109, 0xb836, v109
	v_add_f16_e32 v112, v120, v112
	v_fmac_f16_e32 v117, 0x3964, v86
	v_add_f16_e32 v116, v121, v116
	v_fma_f16 v120, v73, 0xbbdd, -v127
	v_mul_f16_e32 v150, 0x35c8, v118
	v_add_f16_e32 v124, v152, v148
	v_fmamk_f16 v121, v93, 0xbacd, v109
	v_mul_f16_e32 v118, 0xb1e1, v118
	v_add_f16_e32 v112, v117, v112
	v_add_f16_e32 v116, v120, v116
	v_fma_f16 v117, v82, 0xb461, -v129
	v_add_f16_e32 v120, v121, v124
	v_fmamk_f16 v121, v97, 0xbbdd, v118
	v_fmac_f16_e32 v122, 0xb5c8, v90
	v_add_f16_sdwa v67, v67, v29 dst_sel:DWORD dst_unused:UNUSED_PAD src0_sel:DWORD src1_sel:WORD_1
	v_add_f16_e32 v116, v117, v116
	v_fma_f16 v117, v85, 0x39e9, -v128
	v_add_f16_e32 v120, v121, v120
	v_fma_f16 v121, v68, 0x39e9, -v126
	;; [unrolled: 2-line block ×4, first 2 shown]
	v_add_f16_e32 v121, v121, v29
	v_add_f16_e32 v30, v30, v29
	;; [unrolled: 1-line block ×3, first 2 shown]
	v_fma_f16 v67, v85, 0xbacd, -v144
	v_add_f16_e32 v116, v117, v116
	v_fma_f16 v117, v93, 0x2de8, -v136
	v_add_f16_e32 v121, v122, v121
	;; [unrolled: 2-line block ×3, first 2 shown]
	v_add_f16_e32 v65, v65, v66
	v_add_f16_e32 v116, v117, v116
	v_fma_f16 v117, v97, 0xbacd, -v140
	v_fmac_f16_e32 v114, 0xb964, v69
	v_add_f16_e32 v30, v34, v30
	v_fma_f16 v34, v89, 0xb461, -v149
	v_add_f16_e32 v64, v64, v65
	v_add_f16_e32 v116, v117, v116
	;; [unrolled: 1-line block ×3, first 2 shown]
	v_fma_f16 v121, v82, 0xbbdd, -v147
	v_add_f16_e32 v30, v35, v30
	v_fmac_f16_e32 v87, 0xb5c8, v69
	v_add_f16_sdwa v114, v114, v29 dst_sel:DWORD dst_unused:UNUSED_PAD src0_sel:DWORD src1_sel:WORD_1
	v_fmac_f16_e32 v132, 0xbbf7, v72
	v_add_f16_e32 v33, v121, v117
	v_add_f16_e32 v30, v36, v30
	v_fma_f16 v36, v93, 0x3722, -v151
	v_fmac_f16_e32 v91, 0xb964, v72
	v_add_f16_e32 v114, v132, v114
	v_add_f16_e32 v33, v67, v33
	;; [unrolled: 1-line block ×3, first 2 shown]
	v_add_f16_sdwa v37, v87, v29 dst_sel:DWORD dst_unused:UNUSED_PAD src0_sel:DWORD src1_sel:WORD_1
	v_fmac_f16_e32 v135, 0xba62, v76
	v_fmac_f16_e32 v95, 0xbb29, v76
	v_add_f16_e32 v33, v34, v33
	v_add_f16_e32 v34, v63, v64
	;; [unrolled: 1-line block ×4, first 2 shown]
	v_fmac_f16_e32 v137, 0xb1e1, v83
	v_add_f16_e32 v33, v36, v33
	v_add_f16_e32 v34, v62, v34
	v_fma_f16 v36, v97, 0x3b76, -v150
	v_add_f16_e32 v30, v31, v30
	v_add_f16_e32 v31, v91, v37
	v_fmac_f16_e32 v100, 0xbbf7, v83
	v_add_f16_e32 v34, v61, v34
	v_add_f16_e32 v33, v36, v33
	v_fma_f16 v36, v68, 0x3b76, -v84
	v_add_f16_e32 v30, v32, v30
	v_fma_f16 v32, v70, 0x39e9, -v88
	v_add_f16_e32 v34, v60, v34
	v_add_f16_e32 v31, v95, v31
	;; [unrolled: 1-line block ×4, first 2 shown]
	v_fma_f16 v30, v73, 0x3722, -v92
	v_add_f16_e32 v34, v59, v34
	v_add_f16_e32 v114, v137, v114
	;; [unrolled: 1-line block ×4, first 2 shown]
	v_fmac_f16_e32 v139, 0x3836, v86
	v_add_f16_e32 v34, v58, v34
	v_add_f16_e32 v31, v100, v31
	;; [unrolled: 1-line block ×3, first 2 shown]
	v_fma_f16 v29, v82, 0x2de8, -v96
	v_add_f16_e32 v25, v25, v27
	v_add_f16_e32 v32, v56, v34
	v_fmac_f16_e32 v105, 0xbbb2, v86
	v_mul_f16_e32 v123, 0xbbdd, v123
	v_add_f16_e32 v28, v29, v28
	v_add_f16_e32 v25, v26, v25
	v_add_f16_e32 v30, v55, v32
	v_fma_f16 v26, v85, 0xb461, -v101
	v_add_f16_e32 v114, v139, v114
	v_fmac_f16_e32 v138, 0x3bb2, v90
	v_add_f16_e32 v17, v17, v25
	v_add_f16_e32 v29, v57, v30
	;; [unrolled: 1-line block ×3, first 2 shown]
	v_fmac_f16_e32 v111, 0xba62, v90
	v_add_f16_e32 v25, v26, v28
	v_fma_f16 v26, v89, 0xb8d2, -v106
	v_add_f16_e32 v29, v51, v29
	v_add_f16_e32 v17, v18, v17
	v_fmamk_f16 v154, v97, 0x3b76, v150
	v_fmamk_f16 v115, v98, 0x31e1, v123
	v_fmac_f16_e32 v125, 0xbbf7, v94
	v_add_f16_e32 v28, v50, v29
	v_add_f16_e32 v114, v138, v114
	v_fmac_f16_e32 v143, 0x3b29, v94
	v_add_f16_e32 v27, v111, v27
	v_fmac_f16_e32 v119, 0xb836, v94
	v_add_f16_e32 v18, v26, v25
	v_fma_f16 v25, v93, 0xbacd, -v109
	v_add_f16_sdwa v26, v49, v28 dst_sel:WORD_1 dst_unused:UNUSED_PAD src0_sel:DWORD src1_sel:DWORD
	v_add_f16_e32 v17, v48, v17
	v_mov_b32_e32 v28, 2
	v_add_f16_e32 v134, v154, v134
	v_add_f16_e32 v115, v115, v141
	;; [unrolled: 1-line block ×3, first 2 shown]
	v_fmac_f16_e32 v130, 0xb836, v98
	v_add_f16_e32 v35, v143, v114
	v_fmac_f16_e32 v146, 0x35c8, v98
	v_add_f16_e32 v27, v119, v27
	;; [unrolled: 2-line block ×3, first 2 shown]
	v_fma_f16 v25, v97, 0xbbdd, -v118
	v_or_b32_sdwa v17, v26, v17 dst_sel:DWORD dst_unused:UNUSED_PAD src0_sel:DWORD src1_sel:WORD_0
	v_lshlrev_b32_sdwa v26, v28, v47 dst_sel:DWORD dst_unused:UNUSED_PAD src0_sel:DWORD src1_sel:WORD_0
	v_pack_b32_f16 v28, v134, v131
	v_pack_b32_f16 v29, v120, v115
	;; [unrolled: 1-line block ×4, first 2 shown]
	v_add_f16_e32 v112, v130, v112
	v_pack_b32_f16 v32, v104, v107
	v_pack_b32_f16 v34, v99, v102
	v_add_f16_e32 v35, v146, v35
	v_add_f16_e32 v27, v123, v27
	;; [unrolled: 1-line block ×3, first 2 shown]
	ds_write_b32 v26, v17
	ds_write2_b32 v26, v29, v28 offset0:1 offset1:2
	ds_write2_b32 v26, v31, v30 offset0:3 offset1:4
	;; [unrolled: 1-line block ×3, first 2 shown]
	v_perm_b32 v17, v81, v43, 0x5040100
	v_perm_b32 v25, v74, v71, 0x5040100
	;; [unrolled: 1-line block ×6, first 2 shown]
	v_pack_b32_f16 v32, v116, v112
	v_perm_b32 v34, v78, v40, 0x5040100
	v_pack_b32_f16 v18, v18, v27
	v_pack_b32_f16 v27, v33, v35
	ds_write2_b32 v26, v25, v17 offset0:7 offset1:8
	ds_write2_b32 v26, v29, v28 offset0:9 offset1:10
	;; [unrolled: 1-line block ×5, first 2 shown]
.LBB0_17:
	s_or_b32 exec_lo, exec_lo, s1
	v_add_nc_u32_e32 v25, 0x500, v45
	v_add_nc_u32_e32 v26, 0xb00, v45
	s_waitcnt lgkmcnt(0)
	s_barrier
	buffer_gl0_inv
	ds_read2_b32 v[17:18], v45 offset1:187
	ds_read2_b32 v[27:28], v25 offset0:54 offset1:241
	ds_read2_b32 v[25:26], v26 offset0:44 offset1:231
	ds_read_b32 v29, v45 offset:4488
	s_and_saveexec_b32 s1, s0
	s_cbranch_execz .LBB0_19
; %bb.18:
	v_add_nc_u32_e32 v30, 0x400, v45
	v_add_nc_u32_e32 v31, 0xa00, v45
	;; [unrolled: 1-line block ×3, first 2 shown]
	ds_read_b32 v71, v45 offset:476
	ds_read2_b32 v[43:44], v30 offset0:50 offset1:237
	ds_read2_b32 v[41:42], v31 offset0:40 offset1:227
	;; [unrolled: 1-line block ×3, first 2 shown]
	s_waitcnt lgkmcnt(3)
	v_lshrrev_b32_e32 v74, 16, v71
	s_waitcnt lgkmcnt(2)
	v_lshrrev_b32_e32 v81, 16, v43
	v_lshrrev_b32_e32 v80, 16, v44
	s_waitcnt lgkmcnt(1)
	v_lshrrev_b32_e32 v79, 16, v41
	;; [unrolled: 3-line block ×3, first 2 shown]
	v_lshrrev_b32_e32 v78, 16, v40
.LBB0_19:
	s_or_b32 exec_lo, exec_lo, s1
	s_waitcnt lgkmcnt(3)
	v_lshrrev_b32_e32 v30, 16, v18
	s_waitcnt lgkmcnt(2)
	v_lshrrev_b32_e32 v31, 16, v27
	v_lshrrev_b32_e32 v32, 16, v28
	v_mul_f16_sdwa v33, v4, v18 dst_sel:DWORD dst_unused:UNUSED_PAD src0_sel:WORD_1 src1_sel:DWORD
	s_waitcnt lgkmcnt(1)
	v_lshrrev_b32_e32 v34, 16, v25
	v_mul_f16_sdwa v35, v4, v30 dst_sel:DWORD dst_unused:UNUSED_PAD src0_sel:WORD_1 src1_sel:DWORD
	v_lshrrev_b32_e32 v36, 16, v26
	s_waitcnt lgkmcnt(0)
	v_lshrrev_b32_e32 v37, 16, v29
	v_fma_f16 v30, v4, v30, -v33
	v_mul_f16_sdwa v33, v5, v31 dst_sel:DWORD dst_unused:UNUSED_PAD src0_sel:WORD_1 src1_sel:DWORD
	v_fmac_f16_e32 v35, v4, v18
	v_mul_f16_sdwa v4, v5, v27 dst_sel:DWORD dst_unused:UNUSED_PAD src0_sel:WORD_1 src1_sel:DWORD
	v_mul_f16_sdwa v18, v6, v32 dst_sel:DWORD dst_unused:UNUSED_PAD src0_sel:WORD_1 src1_sel:DWORD
	;; [unrolled: 1-line block ×4, first 2 shown]
	v_fmac_f16_e32 v33, v5, v27
	v_fma_f16 v4, v5, v31, -v4
	v_fmac_f16_e32 v18, v6, v28
	v_fma_f16 v5, v6, v32, -v38
	v_mul_f16_sdwa v6, v22, v37 dst_sel:DWORD dst_unused:UNUSED_PAD src0_sel:WORD_1 src1_sel:DWORD
	v_mul_f16_sdwa v27, v22, v29 dst_sel:DWORD dst_unused:UNUSED_PAD src0_sel:WORD_1 src1_sel:DWORD
	;; [unrolled: 1-line block ×4, first 2 shown]
	v_fmac_f16_e32 v47, v7, v25
	v_mul_f16_sdwa v25, v7, v25 dst_sel:DWORD dst_unused:UNUSED_PAD src0_sel:WORD_1 src1_sel:DWORD
	v_fmac_f16_e32 v6, v22, v29
	v_fma_f16 v22, v22, v37, -v27
	v_fmac_f16_e32 v28, v21, v26
	v_fma_f16 v21, v21, v36, -v31
	v_fma_f16 v7, v7, v34, -v25
	v_add_f16_e32 v25, v35, v6
	v_add_f16_e32 v26, v30, v22
	v_sub_f16_e32 v22, v30, v22
	v_add_f16_e32 v29, v4, v21
	v_add_f16_e32 v27, v33, v28
	;; [unrolled: 1-line block ×3, first 2 shown]
	v_sub_f16_e32 v28, v33, v28
	v_sub_f16_e32 v4, v4, v21
	v_add_f16_e32 v31, v29, v26
	v_add_f16_e32 v21, v18, v47
	v_sub_f16_e32 v5, v7, v5
	v_add_f16_e32 v7, v27, v25
	v_sub_f16_e32 v33, v29, v26
	v_sub_f16_e32 v26, v26, v30
	;; [unrolled: 1-line block ×3, first 2 shown]
	v_add_f16_e32 v30, v30, v31
	v_sub_f16_e32 v18, v47, v18
	v_sub_f16_e32 v32, v27, v25
	;; [unrolled: 1-line block ×4, first 2 shown]
	v_add_f16_e32 v7, v21, v7
	v_add_f16_sdwa v21, v30, v17 dst_sel:DWORD dst_unused:UNUSED_PAD src0_sel:DWORD src1_sel:WORD_1
	v_sub_f16_e32 v6, v35, v6
	v_add_f16_e32 v31, v18, v28
	v_add_f16_e32 v34, v5, v4
	v_sub_f16_e32 v35, v18, v28
	v_sub_f16_e32 v36, v5, v4
	v_add_f16_e32 v17, v7, v17
	v_lshlrev_b32_e32 v37, 16, v21
	v_sub_f16_e32 v28, v28, v6
	v_sub_f16_e32 v4, v4, v22
	;; [unrolled: 1-line block ×4, first 2 shown]
	v_add_f16_e32 v6, v31, v6
	v_add_f16_e32 v22, v34, v22
	v_or_b32_sdwa v31, v37, v17 dst_sel:DWORD dst_unused:UNUSED_PAD src0_sel:DWORD src1_sel:WORD_0
	v_mul_f16_e32 v25, 0x3a52, v25
	v_mul_f16_e32 v26, 0x3a52, v26
	;; [unrolled: 1-line block ×8, first 2 shown]
	v_fmac_f16_e32 v17, 0xbcab, v7
	v_fmac_f16_e32 v21, 0xbcab, v30
	v_fmamk_f16 v7, v27, 0x2b26, v25
	v_fmamk_f16 v27, v29, 0x2b26, v26
	v_fma_f16 v29, v32, 0x39e0, -v34
	v_fma_f16 v30, v33, 0x39e0, -v37
	;; [unrolled: 1-line block ×4, first 2 shown]
	v_fmamk_f16 v32, v18, 0xb574, v35
	v_fmamk_f16 v33, v5, 0xb574, v36
	v_fma_f16 v28, v28, 0xbb00, -v35
	v_fma_f16 v4, v4, 0xbb00, -v36
	;; [unrolled: 1-line block ×4, first 2 shown]
	v_add_f16_e32 v7, v7, v17
	v_add_f16_e32 v27, v27, v21
	v_fmac_f16_e32 v32, 0xb70e, v6
	v_fmac_f16_e32 v33, 0xb70e, v22
	v_add_f16_e32 v29, v29, v17
	v_add_f16_e32 v30, v30, v21
	;; [unrolled: 1-line block ×4, first 2 shown]
	v_fmac_f16_e32 v28, 0xb70e, v6
	v_fmac_f16_e32 v5, 0xb70e, v22
	;; [unrolled: 1-line block ×4, first 2 shown]
	v_add_f16_e32 v6, v33, v7
	v_sub_f16_e32 v22, v27, v32
	v_add_f16_e32 v25, v5, v17
	v_sub_f16_e32 v26, v21, v18
	v_sub_f16_e32 v34, v29, v4
	v_add_f16_e32 v35, v28, v30
	v_add_f16_e32 v4, v4, v29
	v_sub_f16_e32 v28, v30, v28
	v_sub_f16_e32 v5, v17, v5
	v_add_f16_e32 v17, v18, v21
	v_sub_f16_e32 v7, v7, v33
	v_add_f16_e32 v18, v32, v27
	v_pack_b32_f16 v6, v6, v22
	v_pack_b32_f16 v21, v25, v26
	;; [unrolled: 1-line block ×6, first 2 shown]
	s_barrier
	buffer_gl0_inv
	ds_write2_b32 v54, v31, v6 offset1:17
	ds_write2_b32 v54, v21, v22 offset0:34 offset1:51
	ds_write2_b32 v54, v4, v5 offset0:68 offset1:85
	ds_write_b32 v54, v7 offset:408
	s_and_saveexec_b32 s1, s0
	s_cbranch_execz .LBB0_21
; %bb.20:
	v_mul_f16_sdwa v5, v20, v78 dst_sel:DWORD dst_unused:UNUSED_PAD src0_sel:WORD_1 src1_sel:DWORD
	v_mul_f16_sdwa v22, v20, v40 dst_sel:DWORD dst_unused:UNUSED_PAD src0_sel:WORD_1 src1_sel:DWORD
	v_mul_f16_sdwa v4, v0, v81 dst_sel:DWORD dst_unused:UNUSED_PAD src0_sel:WORD_1 src1_sel:DWORD
	v_mul_f16_sdwa v17, v1, v80 dst_sel:DWORD dst_unused:UNUSED_PAD src0_sel:WORD_1 src1_sel:DWORD
	v_mul_f16_sdwa v18, v19, v77 dst_sel:DWORD dst_unused:UNUSED_PAD src0_sel:WORD_1 src1_sel:DWORD
	v_fmac_f16_e32 v5, v20, v40
	v_mul_f16_sdwa v26, v0, v43 dst_sel:DWORD dst_unused:UNUSED_PAD src0_sel:WORD_1 src1_sel:DWORD
	v_fma_f16 v20, v20, v78, -v22
	v_mul_f16_sdwa v22, v19, v39 dst_sel:DWORD dst_unused:UNUSED_PAD src0_sel:WORD_1 src1_sel:DWORD
	v_mul_f16_sdwa v27, v1, v44 dst_sel:DWORD dst_unused:UNUSED_PAD src0_sel:WORD_1 src1_sel:DWORD
	;; [unrolled: 1-line block ×4, first 2 shown]
	v_fmac_f16_e32 v4, v0, v43
	v_fmac_f16_e32 v17, v1, v44
	;; [unrolled: 1-line block ×3, first 2 shown]
	v_fma_f16 v0, v0, v81, -v26
	v_mul_f16_sdwa v26, v2, v41 dst_sel:DWORD dst_unused:UNUSED_PAD src0_sel:WORD_1 src1_sel:DWORD
	v_mul_f16_sdwa v28, v3, v42 dst_sel:DWORD dst_unused:UNUSED_PAD src0_sel:WORD_1 src1_sel:DWORD
	v_fma_f16 v19, v19, v77, -v22
	v_fma_f16 v1, v1, v80, -v27
	v_fmac_f16_e32 v6, v3, v42
	v_fmac_f16_e32 v7, v2, v41
	v_fma_f16 v2, v2, v79, -v26
	v_fma_f16 v3, v3, v75, -v28
	v_add_f16_e32 v26, v20, v0
	v_add_f16_e32 v27, v19, v1
	v_sub_f16_e32 v21, v4, v5
	v_sub_f16_e32 v25, v6, v7
	;; [unrolled: 1-line block ×3, first 2 shown]
	v_add_f16_e32 v29, v2, v3
	v_add_f16_e32 v31, v27, v26
	v_add_f16_e32 v4, v5, v4
	v_sub_f16_e32 v30, v21, v25
	v_sub_f16_e32 v28, v25, v22
	v_add_f16_e32 v25, v25, v22
	v_add_f16_e32 v31, v29, v31
	;; [unrolled: 1-line block ×4, first 2 shown]
	v_sub_f16_e32 v2, v3, v2
	v_add_f16_e32 v17, v25, v21
	v_add_f16_e32 v34, v74, v31
	;; [unrolled: 1-line block ×3, first 2 shown]
	v_sub_f16_e32 v1, v1, v19
	v_sub_f16_e32 v0, v0, v20
	;; [unrolled: 1-line block ×3, first 2 shown]
	v_fmamk_f16 v7, v31, 0xbcab, v34
	v_sub_f16_e32 v31, v4, v6
	v_add_f16_e32 v25, v6, v25
	v_sub_f16_e32 v20, v2, v1
	v_sub_f16_e32 v36, v0, v2
	v_add_f16_e32 v2, v2, v1
	v_mul_f16_e32 v3, 0x3a52, v31
	v_sub_f16_e32 v6, v6, v5
	v_add_f16_e32 v19, v71, v25
	v_sub_f16_e32 v21, v22, v21
	v_mul_f16_e32 v32, 0x3a52, v32
	v_sub_f16_e32 v29, v29, v27
	v_add_f16_e32 v2, v2, v0
	v_sub_f16_e32 v0, v1, v0
	v_mul_f16_e32 v28, 0x3846, v28
	v_fmamk_f16 v35, v6, 0x2b26, v3
	v_fmamk_f16 v25, v25, 0xbcab, v19
	v_mul_f16_e32 v20, 0x3846, v20
	v_mul_f16_e32 v37, 0xbb00, v21
	v_sub_f16_e32 v26, v27, v26
	v_fmamk_f16 v18, v29, 0x2b26, v32
	v_mul_f16_e32 v29, 0x2b26, v29
	v_mul_f16_e32 v6, 0x2b26, v6
	v_sub_f16_e32 v4, v5, v4
	v_mul_f16_e32 v27, 0xbb00, v0
	v_fmamk_f16 v33, v30, 0xb574, v28
	v_add_f16_e32 v22, v35, v25
	v_fmamk_f16 v35, v36, 0xb574, v20
	v_fma_f16 v1, v30, 0x3574, -v37
	v_fma_f16 v5, v26, 0xb9e0, -v32
	v_fma_f16 v21, v21, 0xbb00, -v28
	v_fma_f16 v3, v4, 0xb9e0, -v3
	v_fma_f16 v27, v36, 0x3574, -v27
	v_fma_f16 v26, v26, 0x39e0, -v29
	v_fma_f16 v0, v0, 0xbb00, -v20
	v_fma_f16 v4, v4, 0x39e0, -v6
	v_fmac_f16_e32 v33, 0xb70e, v17
	v_add_f16_e32 v18, v18, v7
	v_fmac_f16_e32 v35, 0xb70e, v2
	v_fmac_f16_e32 v1, 0xb70e, v17
	v_add_f16_e32 v5, v5, v7
	v_fmac_f16_e32 v21, 0xb70e, v17
	v_mov_b32_e32 v17, 0x77
	v_add_f16_e32 v3, v3, v25
	v_fmac_f16_e32 v27, 0xb70e, v2
	v_add_f16_e32 v6, v26, v7
	v_fmac_f16_e32 v0, 0xb70e, v2
	v_add_f16_e32 v2, v4, v25
	v_add_f16_e32 v31, v33, v18
	v_add_f16_e32 v4, v1, v5
	v_sub_f16_e32 v1, v5, v1
	v_mul_u32_u24_sdwa v5, v52, v17 dst_sel:DWORD dst_unused:UNUSED_PAD src0_sel:WORD_0 src1_sel:DWORD
	v_sub_f16_e32 v17, v18, v33
	v_add_f16_e32 v18, v35, v22
	v_sub_f16_e32 v7, v3, v27
	v_sub_f16_e32 v20, v6, v21
	v_add_f16_e32 v25, v0, v2
	v_add_f16_e32 v6, v21, v6
	;; [unrolled: 1-line block ×3, first 2 shown]
	v_sub_f16_e32 v0, v2, v0
	v_sub_f16_e32 v30, v22, v35
	v_add_lshl_u32 v2, v5, v53, 2
	v_pack_b32_f16 v5, v19, v34
	v_pack_b32_f16 v17, v18, v17
	v_pack_b32_f16 v1, v3, v1
	v_pack_b32_f16 v0, v0, v6
	v_pack_b32_f16 v3, v25, v20
	v_pack_b32_f16 v4, v7, v4
	v_pack_b32_f16 v6, v30, v31
	ds_write2_b32 v2, v5, v17 offset1:17
	ds_write2_b32 v2, v1, v0 offset0:34 offset1:51
	ds_write2_b32 v2, v3, v4 offset0:68 offset1:85
	ds_write_b32 v2, v6 offset:408
.LBB0_21:
	s_or_b32 exec_lo, exec_lo, s1
	s_waitcnt lgkmcnt(0)
	s_barrier
	buffer_gl0_inv
	v_add_nc_u32_e32 v0, 0x400, v45
	ds_read2_b32 v[6:7], v45 offset0:119 offset1:238
	v_add_nc_u32_e32 v5, 0x800, v45
	v_add_nc_u32_e32 v3, 0xc00, v45
	;; [unrolled: 1-line block ×3, first 2 shown]
	ds_read2_b32 v[17:18], v0 offset0:101 offset1:220
	ds_read2_b32 v[19:20], v5 offset0:83 offset1:202
	;; [unrolled: 1-line block ×4, first 2 shown]
	ds_read_b32 v1, v45
	s_waitcnt lgkmcnt(5)
	v_lshrrev_b32_e32 v4, 16, v6
	v_lshrrev_b32_e32 v27, 16, v7
	v_mul_f16_sdwa v28, v12, v6 dst_sel:DWORD dst_unused:UNUSED_PAD src0_sel:WORD_1 src1_sel:DWORD
	v_mul_f16_sdwa v29, v13, v7 dst_sel:DWORD dst_unused:UNUSED_PAD src0_sel:WORD_1 src1_sel:DWORD
	s_waitcnt lgkmcnt(4)
	v_lshrrev_b32_e32 v30, 16, v17
	v_mul_f16_sdwa v38, v12, v4 dst_sel:DWORD dst_unused:UNUSED_PAD src0_sel:WORD_1 src1_sel:DWORD
	s_waitcnt lgkmcnt(3)
	v_lshrrev_b32_e32 v32, 16, v19
	v_fma_f16 v4, v12, v4, -v28
	v_mul_f16_sdwa v28, v13, v27 dst_sel:DWORD dst_unused:UNUSED_PAD src0_sel:WORD_1 src1_sel:DWORD
	v_fma_f16 v27, v13, v27, -v29
	v_mul_f16_sdwa v29, v14, v17 dst_sel:DWORD dst_unused:UNUSED_PAD src0_sel:WORD_1 src1_sel:DWORD
	v_mul_f16_sdwa v39, v14, v30 dst_sel:DWORD dst_unused:UNUSED_PAD src0_sel:WORD_1 src1_sel:DWORD
	v_fmac_f16_e32 v38, v12, v6
	v_lshrrev_b32_e32 v31, 16, v18
	v_fmac_f16_e32 v28, v13, v7
	v_fma_f16 v6, v14, v30, -v29
	v_fmac_f16_e32 v39, v14, v17
	s_waitcnt lgkmcnt(0)
	v_add_f16_e32 v12, v38, v1
	v_mul_f16_sdwa v13, v8, v32 dst_sel:DWORD dst_unused:UNUSED_PAD src0_sel:WORD_1 src1_sel:DWORD
	v_mul_f16_sdwa v14, v8, v19 dst_sel:DWORD dst_unused:UNUSED_PAD src0_sel:WORD_1 src1_sel:DWORD
	v_add_f16_sdwa v17, v4, v1 dst_sel:DWORD dst_unused:UNUSED_PAD src0_sel:DWORD src1_sel:WORD_1
	v_mul_f16_sdwa v40, v15, v18 dst_sel:DWORD dst_unused:UNUSED_PAD src0_sel:WORD_1 src1_sel:DWORD
	v_mul_f16_sdwa v41, v15, v31 dst_sel:DWORD dst_unused:UNUSED_PAD src0_sel:WORD_1 src1_sel:DWORD
	v_add_f16_e32 v12, v12, v28
	v_fmac_f16_e32 v13, v8, v19
	v_fma_f16 v8, v8, v32, -v14
	v_add_f16_e32 v14, v17, v27
	v_lshrrev_b32_e32 v33, 16, v20
	v_fmac_f16_e32 v41, v15, v18
	v_fma_f16 v7, v15, v31, -v40
	v_add_f16_e32 v12, v12, v39
	v_add_f16_e32 v14, v14, v6
	v_lshrrev_b32_e32 v34, 16, v21
	v_lshrrev_b32_e32 v35, 16, v22
	v_mul_f16_sdwa v15, v9, v33 dst_sel:DWORD dst_unused:UNUSED_PAD src0_sel:WORD_1 src1_sel:DWORD
	v_mul_f16_sdwa v17, v9, v20 dst_sel:DWORD dst_unused:UNUSED_PAD src0_sel:WORD_1 src1_sel:DWORD
	v_add_f16_e32 v12, v12, v41
	v_add_f16_e32 v14, v14, v7
	v_mul_f16_sdwa v18, v10, v34 dst_sel:DWORD dst_unused:UNUSED_PAD src0_sel:WORD_1 src1_sel:DWORD
	v_fmac_f16_e32 v15, v9, v20
	v_mul_f16_sdwa v19, v10, v21 dst_sel:DWORD dst_unused:UNUSED_PAD src0_sel:WORD_1 src1_sel:DWORD
	v_fma_f16 v9, v9, v33, -v17
	v_add_f16_e32 v12, v12, v13
	v_mul_f16_sdwa v17, v11, v35 dst_sel:DWORD dst_unused:UNUSED_PAD src0_sel:WORD_1 src1_sel:DWORD
	v_add_f16_e32 v14, v14, v8
	v_lshrrev_b32_e32 v36, 16, v25
	v_lshrrev_b32_e32 v37, 16, v26
	v_fmac_f16_e32 v18, v10, v21
	v_fma_f16 v10, v10, v34, -v19
	v_mul_f16_sdwa v19, v11, v22 dst_sel:DWORD dst_unused:UNUSED_PAD src0_sel:WORD_1 src1_sel:DWORD
	v_add_f16_e32 v12, v12, v15
	v_fmac_f16_e32 v17, v11, v22
	v_add_f16_e32 v14, v14, v9
	v_mul_f16_sdwa v22, v24, v26 dst_sel:DWORD dst_unused:UNUSED_PAD src0_sel:WORD_1 src1_sel:DWORD
	v_mul_f16_sdwa v20, v23, v36 dst_sel:DWORD dst_unused:UNUSED_PAD src0_sel:WORD_1 src1_sel:DWORD
	v_fma_f16 v11, v11, v35, -v19
	v_add_f16_e32 v12, v12, v18
	v_mul_f16_sdwa v19, v23, v25 dst_sel:DWORD dst_unused:UNUSED_PAD src0_sel:WORD_1 src1_sel:DWORD
	v_mul_f16_sdwa v21, v24, v37 dst_sel:DWORD dst_unused:UNUSED_PAD src0_sel:WORD_1 src1_sel:DWORD
	v_add_f16_e32 v14, v14, v10
	v_fma_f16 v22, v24, v37, -v22
	v_fmac_f16_e32 v20, v23, v25
	v_add_f16_e32 v12, v12, v17
	v_fma_f16 v19, v23, v36, -v19
	v_fmac_f16_e32 v21, v24, v26
	v_add_f16_e32 v14, v14, v11
	v_sub_f16_e32 v23, v4, v22
	v_add_f16_e32 v12, v12, v20
	v_add_f16_e32 v4, v4, v22
	;; [unrolled: 1-line block ×4, first 2 shown]
	v_mul_f16_e32 v25, 0xb853, v23
	v_sub_f16_e32 v44, v27, v19
	v_add_f16_e32 v12, v12, v21
	v_sub_f16_e32 v21, v38, v21
	v_add_f16_sdwa v14, v14, v22 dst_sel:WORD_1 dst_unused:UNUSED_PAD src0_sel:DWORD src1_sel:DWORD
	v_mul_f16_e32 v22, 0x3abb, v4
	v_fmamk_f16 v26, v24, 0x3abb, v25
	v_mul_f16_e32 v29, 0xbb47, v23
	v_mul_f16_e32 v31, 0x36a6, v4
	;; [unrolled: 1-line block ×8, first 2 shown]
	v_add_f16_e32 v48, v28, v20
	v_mul_f16_e32 v49, 0xbb47, v44
	v_add_f16_e32 v19, v27, v19
	v_or_b32_sdwa v12, v14, v12 dst_sel:DWORD dst_unused:UNUSED_PAD src0_sel:DWORD src1_sel:WORD_0
	v_fmamk_f16 v14, v21, 0x3853, v22
	v_add_f16_e32 v26, v26, v1
	v_fma_f16 v25, v24, 0x3abb, -v25
	v_fmac_f16_e32 v22, 0xb853, v21
	v_fmamk_f16 v30, v24, 0x36a6, v29
	v_fmamk_f16 v33, v21, 0x3b47, v31
	v_fma_f16 v29, v24, 0x36a6, -v29
	v_fmac_f16_e32 v31, 0xbb47, v21
	v_fmamk_f16 v34, v24, 0xb08e, v32
	v_fmamk_f16 v36, v21, 0x3beb, v35
	;; [unrolled: 4-line block ×4, first 2 shown]
	v_fma_f16 v23, v24, 0xbbad, -v23
	v_fmac_f16_e32 v4, 0xb482, v21
	v_sub_f16_e32 v20, v28, v20
	v_fmamk_f16 v21, v48, 0x36a6, v49
	v_mul_f16_e32 v24, 0x36a6, v19
	v_add_f16_sdwa v14, v14, v1 dst_sel:DWORD dst_unused:UNUSED_PAD src0_sel:DWORD src1_sel:WORD_1
	v_add_f16_e32 v25, v25, v1
	v_add_f16_sdwa v22, v22, v1 dst_sel:DWORD dst_unused:UNUSED_PAD src0_sel:DWORD src1_sel:WORD_1
	v_add_f16_e32 v30, v30, v1
	;; [unrolled: 2-line block ×10, first 2 shown]
	v_fmamk_f16 v21, v20, 0x3b47, v24
	v_mul_f16_e32 v26, 0xba0c, v44
	v_fma_f16 v28, v48, 0x36a6, -v49
	v_fmac_f16_e32 v24, 0xbb47, v20
	v_mul_f16_e32 v47, 0xb93d, v19
	v_add_f16_e32 v14, v21, v14
	v_fmamk_f16 v21, v48, 0xb93d, v26
	v_add_f16_e32 v25, v28, v25
	v_add_f16_e32 v22, v24, v22
	v_fmamk_f16 v24, v20, 0x3a0c, v47
	v_mul_f16_e32 v28, 0x3482, v44
	v_add_f16_e32 v21, v21, v30
	v_fma_f16 v26, v48, 0xb93d, -v26
	v_fmac_f16_e32 v47, 0xba0c, v20
	v_add_f16_e32 v24, v24, v33
	v_fmamk_f16 v30, v48, 0xbbad, v28
	v_mul_f16_e32 v33, 0xbbad, v19
	v_add_f16_e32 v26, v26, v29
	v_add_f16_e32 v29, v47, v31
	v_mul_f16_e32 v31, 0x3beb, v44
	v_add_f16_e32 v30, v30, v34
	v_fmamk_f16 v34, v20, 0xb482, v33
	v_fma_f16 v28, v48, 0xbbad, -v28
	v_fmac_f16_e32 v33, 0x3482, v20
	v_mul_f16_e32 v49, 0xb08e, v19
	v_fmamk_f16 v47, v48, 0xb08e, v31
	v_mul_f16_e32 v19, 0x3abb, v19
	v_add_f16_e32 v28, v28, v32
	v_add_f16_e32 v32, v33, v35
	v_fmamk_f16 v35, v20, 0xbbeb, v49
	v_fma_f16 v31, v48, 0xb08e, -v31
	v_fmac_f16_e32 v49, 0x3beb, v20
	v_add_f16_e32 v34, v34, v36
	v_mul_f16_e32 v36, 0x3853, v44
	v_add_f16_e32 v35, v35, v42
	v_fmamk_f16 v42, v20, 0xb853, v19
	v_add_f16_e32 v31, v31, v37
	v_add_f16_e32 v37, v49, v38
	v_sub_f16_e32 v38, v6, v11
	v_add_f16_e32 v6, v6, v11
	v_add_f16_e32 v33, v47, v40
	v_fmamk_f16 v40, v48, 0x3abb, v36
	v_add_f16_e32 v27, v42, v27
	v_add_f16_e32 v42, v39, v17
	v_mul_f16_e32 v11, 0xbbeb, v38
	v_fma_f16 v36, v48, 0x3abb, -v36
	v_fmac_f16_e32 v19, 0x3853, v20
	v_sub_f16_e32 v17, v39, v17
	v_mul_f16_e32 v20, 0xb08e, v6
	v_fmamk_f16 v39, v42, 0xb08e, v11
	v_add_f16_e32 v23, v36, v23
	v_add_f16_e32 v1, v19, v1
	v_mul_f16_e32 v19, 0x3482, v38
	v_fmamk_f16 v36, v17, 0x3beb, v20
	v_fmac_f16_e32 v20, 0xbbeb, v17
	v_add_f16_e32 v4, v39, v4
	v_fma_f16 v11, v42, 0xb08e, -v11
	v_fmamk_f16 v39, v42, 0xbbad, v19
	v_add_f16_e32 v14, v36, v14
	v_mul_f16_e32 v36, 0xbbad, v6
	v_add_f16_e32 v20, v20, v22
	v_mul_f16_e32 v22, 0x3b47, v38
	v_add_f16_e32 v40, v40, v43
	v_add_f16_e32 v11, v11, v25
	;; [unrolled: 1-line block ×3, first 2 shown]
	v_fmamk_f16 v25, v17, 0xb482, v36
	v_fma_f16 v19, v42, 0xbbad, -v19
	v_fmac_f16_e32 v36, 0x3482, v17
	v_mul_f16_e32 v39, 0x36a6, v6
	v_fmamk_f16 v43, v42, 0x36a6, v22
	v_add_f16_e32 v24, v25, v24
	v_add_f16_e32 v19, v19, v26
	;; [unrolled: 1-line block ×3, first 2 shown]
	v_fmamk_f16 v26, v17, 0xbb47, v39
	v_add_f16_e32 v29, v43, v30
	v_mul_f16_e32 v30, 0xb853, v38
	v_fma_f16 v22, v42, 0x36a6, -v22
	v_fmac_f16_e32 v39, 0x3b47, v17
	v_add_f16_e32 v26, v26, v34
	v_mul_f16_e32 v34, 0x3abb, v6
	v_fmamk_f16 v36, v42, 0x3abb, v30
	v_add_f16_e32 v22, v22, v28
	v_add_f16_e32 v28, v39, v32
	v_mul_f16_e32 v32, 0xba0c, v38
	v_fmamk_f16 v38, v17, 0x3853, v34
	v_add_f16_e32 v33, v36, v33
	v_fma_f16 v30, v42, 0x3abb, -v30
	v_fmac_f16_e32 v34, 0xb853, v17
	v_fmamk_f16 v36, v42, 0xb93d, v32
	v_mul_f16_e32 v6, 0xb93d, v6
	v_add_f16_e32 v35, v38, v35
	v_add_f16_e32 v30, v30, v31
	v_add_f16_e32 v31, v34, v37
	v_add_f16_e32 v34, v36, v40
	v_sub_f16_e32 v36, v7, v10
	v_add_f16_e32 v7, v7, v10
	v_fmamk_f16 v37, v17, 0x3a0c, v6
	v_fma_f16 v32, v42, 0xb93d, -v32
	v_add_f16_e32 v10, v41, v18
	v_mul_f16_e32 v38, 0xba0c, v36
	v_fmac_f16_e32 v6, 0xba0c, v17
	v_sub_f16_e32 v17, v41, v18
	v_mul_f16_e32 v18, 0xb93d, v7
	v_add_f16_e32 v27, v37, v27
	v_fmamk_f16 v37, v10, 0xb93d, v38
	v_add_f16_e32 v23, v32, v23
	v_add_f16_e32 v1, v6, v1
	v_fmamk_f16 v6, v17, 0x3a0c, v18
	v_mul_f16_e32 v32, 0x3beb, v36
	v_fmac_f16_e32 v18, 0xba0c, v17
	v_add_f16_e32 v4, v37, v4
	v_fma_f16 v37, v10, 0xb93d, -v38
	v_add_f16_e32 v6, v6, v14
	v_fmamk_f16 v14, v10, 0xb08e, v32
	v_mul_f16_e32 v38, 0xb08e, v7
	v_add_f16_e32 v18, v18, v20
	v_mul_f16_e32 v20, 0xb853, v36
	v_add_f16_e32 v11, v37, v11
	v_add_f16_e32 v14, v14, v21
	v_fmamk_f16 v21, v17, 0xbbeb, v38
	v_fma_f16 v32, v10, 0xb08e, -v32
	v_fmac_f16_e32 v38, 0x3beb, v17
	v_fmamk_f16 v37, v10, 0x3abb, v20
	v_mul_f16_e32 v39, 0x3abb, v7
	v_add_f16_e32 v21, v21, v24
	v_add_f16_e32 v19, v32, v19
	;; [unrolled: 1-line block ×4, first 2 shown]
	v_fmamk_f16 v29, v17, 0x3853, v39
	v_mul_f16_e32 v32, 0xb482, v36
	v_fma_f16 v20, v10, 0x3abb, -v20
	v_mul_f16_e32 v37, 0xbbad, v7
	v_mul_f16_e32 v36, 0x3b47, v36
	v_add_f16_e32 v26, v29, v26
	v_fmamk_f16 v29, v10, 0xbbad, v32
	v_fma_f16 v32, v10, 0xbbad, -v32
	v_add_f16_e32 v20, v20, v22
	v_fmamk_f16 v22, v17, 0x3482, v37
	v_fmac_f16_e32 v37, 0xb482, v17
	v_add_f16_e32 v29, v29, v33
	v_add_f16_e32 v30, v32, v30
	v_sub_f16_e32 v32, v8, v9
	v_add_f16_e32 v22, v22, v35
	v_fmamk_f16 v33, v10, 0x36a6, v36
	v_mul_f16_e32 v7, 0x36a6, v7
	v_add_f16_e32 v31, v37, v31
	v_add_f16_e32 v35, v13, v15
	v_mul_f16_e32 v37, 0xb482, v32
	v_add_f16_e32 v8, v8, v9
	v_add_f16_e32 v33, v33, v34
	v_fmamk_f16 v34, v17, 0xbb47, v7
	v_fma_f16 v9, v10, 0x36a6, -v36
	v_fmac_f16_e32 v7, 0x3b47, v17
	v_sub_f16_e32 v10, v13, v15
	v_fmamk_f16 v13, v35, 0xbbad, v37
	v_mul_f16_e32 v15, 0xbbad, v8
	v_fmac_f16_e32 v39, 0xb853, v17
	v_add_f16_e32 v17, v34, v27
	v_add_f16_e32 v9, v9, v23
	;; [unrolled: 1-line block ×4, first 2 shown]
	v_fmamk_f16 v7, v10, 0x3482, v15
	v_mul_f16_e32 v13, 0x3853, v32
	v_fma_f16 v23, v35, 0xbbad, -v37
	v_fmac_f16_e32 v15, 0xb482, v10
	v_mul_f16_e32 v27, 0x3abb, v8
	v_add_f16_e32 v6, v7, v6
	v_fmamk_f16 v7, v35, 0x3abb, v13
	v_add_f16_e32 v11, v23, v11
	v_add_f16_e32 v15, v15, v18
	v_fmamk_f16 v18, v10, 0xb853, v27
	v_mul_f16_e32 v23, 0xba0c, v32
	v_fma_f16 v13, v35, 0x3abb, -v13
	v_fmac_f16_e32 v27, 0x3853, v10
	v_add_f16_e32 v7, v7, v14
	v_add_f16_e32 v14, v18, v21
	v_fmamk_f16 v18, v35, 0xb93d, v23
	v_mul_f16_e32 v21, 0xb93d, v8
	v_add_f16_e32 v13, v13, v19
	v_add_f16_e32 v19, v27, v24
	v_mul_f16_e32 v24, 0x3b47, v32
	v_add_f16_e32 v18, v18, v25
	v_fmamk_f16 v25, v10, 0x3a0c, v21
	v_fma_f16 v23, v35, 0xb93d, -v23
	v_mul_f16_e32 v34, 0x36a6, v8
	v_fmamk_f16 v27, v35, 0x36a6, v24
	v_mul_f16_e32 v8, 0xb08e, v8
	v_add_f16_e32 v25, v25, v26
	v_add_f16_e32 v20, v23, v20
	v_fmamk_f16 v26, v10, 0xbb47, v34
	v_add_f16_e32 v23, v27, v29
	v_mul_f16_e32 v27, 0xbbeb, v32
	v_fmamk_f16 v29, v10, 0x3beb, v8
	v_add_f16_e32 v28, v39, v28
	v_add_f16_e32 v22, v26, v22
	v_fmac_f16_e32 v21, 0xba0c, v10
	v_fmamk_f16 v26, v35, 0xb08e, v27
	v_fma_f16 v24, v35, 0x36a6, -v24
	v_fmac_f16_e32 v34, 0x3b47, v10
	v_fma_f16 v27, v35, 0xb08e, -v27
	v_fmac_f16_e32 v8, 0xbbeb, v10
	v_add_f16_e32 v10, v26, v33
	v_pack_b32_f16 v4, v4, v6
	v_add_f16_e32 v6, v29, v17
	v_add_f16_e32 v21, v21, v28
	;; [unrolled: 1-line block ×6, first 2 shown]
	ds_write_b32 v45, v12
	ds_write_b32 v45, v4 offset:476
	v_pack_b32_f16 v7, v7, v14
	v_pack_b32_f16 v12, v18, v25
	v_add_nc_u32_e32 v1, 0x200, v45
	v_pack_b32_f16 v10, v10, v6
	v_add_nc_u32_e32 v6, 0xa00, v45
	v_add_nc_u32_e32 v4, 0xe00, v45
	v_pack_b32_f16 v14, v23, v22
	v_add_nc_u32_e32 v17, 0x600, v45
	v_pack_b32_f16 v8, v9, v8
	v_pack_b32_f16 v9, v24, v28
	;; [unrolled: 1-line block ×5, first 2 shown]
	ds_write2_b32 v1, v7, v12 offset0:110 offset1:229
	ds_write2_b32 v17, v14, v10 offset0:92 offset1:211
	;; [unrolled: 1-line block ×4, first 2 shown]
	ds_write_b32 v45, v11 offset:4760
	s_waitcnt lgkmcnt(0)
	s_barrier
	buffer_gl0_inv
	s_and_b32 exec_lo, exec_lo, vcc_lo
	s_cbranch_execz .LBB0_23
; %bb.22:
	global_load_dword v7, v45, s[8:9]
	ds_read_b32 v8, v45
	s_mov_b32 s12, 0xd336f476
	s_mov_b32 s13, 0x3f490868
	v_mad_u64_u32 v[13:14], null, s4, v46, 0
	s_mul_hi_u32 s3, s4, 0x134
	s_mulk_i32 s4, 0x134
	s_waitcnt lgkmcnt(0)
	v_lshrrev_b32_e32 v9, 16, v8
	s_waitcnt vmcnt(0)
	v_mul_f16_sdwa v10, v9, v7 dst_sel:DWORD dst_unused:UNUSED_PAD src0_sel:DWORD src1_sel:WORD_1
	v_mul_f16_sdwa v11, v8, v7 dst_sel:DWORD dst_unused:UNUSED_PAD src0_sel:DWORD src1_sel:WORD_1
	v_fmac_f16_e32 v10, v8, v7
	v_fma_f16 v7, v7, v9, -v11
	v_mad_u64_u32 v[11:12], null, s6, v16, 0
	v_cvt_f32_f16_e32 v8, v10
	v_cvt_f32_f16_e32 v9, v7
	v_cvt_f64_f32_e32 v[7:8], v8
	v_cvt_f64_f32_e32 v[9:10], v9
	v_mul_f64 v[7:8], v[7:8], s[12:13]
	v_mul_f64 v[9:10], v[9:10], s[12:13]
	v_and_or_b32 v7, 0x1ff, v8, v7
	v_and_or_b32 v9, 0x1ff, v10, v9
	v_lshrrev_b32_e32 v15, 8, v8
	v_bfe_u32 v17, v8, 20, 11
	v_bfe_u32 v19, v10, 20, 11
	v_cmp_ne_u32_e32 vcc_lo, 0, v7
	v_lshrrev_b32_e32 v18, 8, v10
	v_mov_b32_e32 v7, v14
	v_sub_nc_u32_e32 v21, 0x3f1, v17
	v_sub_nc_u32_e32 v22, 0x3f1, v19
	v_cndmask_b32_e64 v20, 0, 1, vcc_lo
	v_cmp_ne_u32_e32 vcc_lo, 0, v9
	v_add_nc_u32_e32 v17, 0xfffffc10, v17
	v_add_nc_u32_e32 v19, 0xfffffc10, v19
	v_lshrrev_b32_e32 v10, 16, v10
	v_and_or_b32 v20, 0xffe, v15, v20
	v_cndmask_b32_e64 v9, 0, 1, vcc_lo
	v_mad_u64_u32 v[14:15], null, s7, v16, v[12:13]
	v_mad_u64_u32 v[15:16], null, s5, v46, v[7:8]
	v_and_or_b32 v9, 0xffe, v18, v9
	v_med3_i32 v18, v21, 0, 13
	v_med3_i32 v21, v22, 0, 13
	v_or_b32_e32 v22, 0x1000, v20
	v_mov_b32_e32 v12, v14
	v_or_b32_e32 v23, 0x1000, v9
	v_mov_b32_e32 v14, v15
	v_lshrrev_b32_e32 v7, v18, v22
	v_lshlrev_b64 v[11:12], 2, v[11:12]
	v_lshrrev_b32_e32 v16, v21, v23
	v_lshlrev_b32_e32 v18, v18, v7
	v_lshlrev_b32_e32 v15, v21, v16
	v_lshl_or_b32 v21, v17, 12, v20
	v_cmp_ne_u32_e32 vcc_lo, v18, v22
	v_cndmask_b32_e64 v18, 0, 1, vcc_lo
	v_cmp_ne_u32_e32 vcc_lo, v15, v23
	v_or_b32_e32 v7, v7, v18
	v_cndmask_b32_e64 v15, 0, 1, vcc_lo
	v_cmp_gt_i32_e32 vcc_lo, 1, v17
	v_lshl_or_b32 v18, v19, 12, v9
	v_or_b32_e32 v15, v16, v15
	v_cndmask_b32_e32 v7, v21, v7, vcc_lo
	v_cmp_gt_i32_e32 vcc_lo, 1, v19
	v_lshrrev_b32_e32 v16, 16, v8
	v_cndmask_b32_e32 v8, v18, v15, vcc_lo
	v_cmp_ne_u32_e32 vcc_lo, 0, v20
	v_and_b32_e32 v18, 7, v7
	v_lshrrev_b32_e32 v7, 2, v7
	v_and_b32_e32 v20, 7, v8
	v_cndmask_b32_e64 v15, 0, 1, vcc_lo
	v_cmp_ne_u32_e32 vcc_lo, 0, v9
	v_cmp_eq_u32_e64 s0, 3, v18
	v_lshrrev_b32_e32 v8, 2, v8
	v_cmp_lt_i32_e64 s1, 5, v20
	v_cmp_eq_u32_e64 s2, 3, v20
	v_cndmask_b32_e64 v9, 0, 1, vcc_lo
	v_cmp_lt_i32_e32 vcc_lo, 5, v18
	v_lshl_or_b32 v15, v15, 9, 0x7c00
	v_lshl_or_b32 v9, v9, 9, 0x7c00
	s_or_b32 vcc_lo, s0, vcc_lo
	v_add_co_ci_u32_e32 v7, vcc_lo, 0, v7, vcc_lo
	s_or_b32 vcc_lo, s2, s1
	v_add_co_ci_u32_e32 v8, vcc_lo, 0, v8, vcc_lo
	v_cmp_gt_i32_e32 vcc_lo, 31, v17
	v_cndmask_b32_e32 v7, 0x7c00, v7, vcc_lo
	v_cmp_gt_i32_e32 vcc_lo, 31, v19
	v_cndmask_b32_e32 v18, 0x7c00, v8, vcc_lo
	v_cmp_eq_u32_e32 vcc_lo, 0x40f, v17
	v_cndmask_b32_e32 v15, v7, v15, vcc_lo
	v_cmp_eq_u32_e32 vcc_lo, 0x40f, v19
	v_lshlrev_b64 v[7:8], 2, v[13:14]
	v_and_or_b32 v13, 0x8000, v16, v15
	v_cndmask_b32_e32 v9, v18, v9, vcc_lo
	v_add_co_u32 v11, vcc_lo, s10, v11
	v_add_co_ci_u32_e32 v12, vcc_lo, s11, v12, vcc_lo
	v_and_or_b32 v9, 0x8000, v10, v9
	v_and_b32_e32 v10, 0xffff, v13
	v_add_co_u32 v7, vcc_lo, v11, v7
	v_add_co_ci_u32_e32 v8, vcc_lo, v12, v8, vcc_lo
	v_lshl_or_b32 v9, v9, 16, v10
	global_store_dword v[7:8], v9, off
	global_load_dword v11, v45, s[8:9] offset:308
	ds_read2_b32 v[9:10], v45 offset0:77 offset1:154
	s_waitcnt lgkmcnt(0)
	v_lshrrev_b32_e32 v12, 16, v9
	s_waitcnt vmcnt(0)
	v_mul_f16_sdwa v13, v12, v11 dst_sel:DWORD dst_unused:UNUSED_PAD src0_sel:DWORD src1_sel:WORD_1
	v_mul_f16_sdwa v14, v9, v11 dst_sel:DWORD dst_unused:UNUSED_PAD src0_sel:DWORD src1_sel:WORD_1
	v_fmac_f16_e32 v13, v9, v11
	v_fma_f16 v9, v11, v12, -v14
	v_cvt_f32_f16_e32 v11, v13
	v_cvt_f32_f16_e32 v9, v9
	v_cvt_f64_f32_e32 v[11:12], v11
	v_cvt_f64_f32_e32 v[13:14], v9
	v_mul_f64 v[11:12], v[11:12], s[12:13]
	v_mul_f64 v[13:14], v[13:14], s[12:13]
	v_and_or_b32 v9, 0x1ff, v12, v11
	v_and_or_b32 v13, 0x1ff, v14, v13
	v_lshrrev_b32_e32 v11, 8, v12
	v_bfe_u32 v15, v12, 20, 11
	v_lshrrev_b32_e32 v16, 8, v14
	v_cmp_ne_u32_e32 vcc_lo, 0, v9
	v_bfe_u32 v17, v14, 20, 11
	v_lshrrev_b32_e32 v12, 16, v12
	v_sub_nc_u32_e32 v18, 0x3f1, v15
	v_add_nc_u32_e32 v15, 0xfffffc10, v15
	v_cndmask_b32_e64 v9, 0, 1, vcc_lo
	v_cmp_ne_u32_e32 vcc_lo, 0, v13
	v_lshrrev_b32_e32 v14, 16, v14
	v_and_or_b32 v9, 0xffe, v11, v9
	v_cndmask_b32_e64 v13, 0, 1, vcc_lo
	v_sub_nc_u32_e32 v11, 0x3f1, v17
	v_add_nc_u32_e32 v17, 0xfffffc10, v17
	v_and_or_b32 v13, 0xffe, v16, v13
	v_med3_i32 v16, v18, 0, 13
	v_or_b32_e32 v18, 0x1000, v9
	v_med3_i32 v11, v11, 0, 13
	v_or_b32_e32 v19, 0x1000, v13
	v_lshrrev_b32_e32 v20, v16, v18
	v_lshrrev_b32_e32 v21, v11, v19
	v_lshlrev_b32_e32 v16, v16, v20
	v_lshlrev_b32_e32 v11, v11, v21
	v_cmp_ne_u32_e32 vcc_lo, v16, v18
	v_lshl_or_b32 v18, v15, 12, v9
	v_cndmask_b32_e64 v16, 0, 1, vcc_lo
	v_cmp_ne_u32_e32 vcc_lo, v11, v19
	v_lshl_or_b32 v19, v17, 12, v13
	v_or_b32_e32 v16, v20, v16
	v_cndmask_b32_e64 v11, 0, 1, vcc_lo
	v_cmp_gt_i32_e32 vcc_lo, 1, v15
	v_or_b32_e32 v11, v21, v11
	v_cndmask_b32_e32 v16, v18, v16, vcc_lo
	v_cmp_gt_i32_e32 vcc_lo, 1, v17
	v_and_b32_e32 v18, 7, v16
	v_cndmask_b32_e32 v11, v19, v11, vcc_lo
	v_cmp_ne_u32_e32 vcc_lo, 0, v9
	v_lshrrev_b32_e32 v16, 2, v16
	v_cmp_eq_u32_e64 s0, 3, v18
	v_and_b32_e32 v19, 7, v11
	v_cndmask_b32_e64 v9, 0, 1, vcc_lo
	v_cmp_ne_u32_e32 vcc_lo, 0, v13
	v_lshrrev_b32_e32 v11, 2, v11
	v_cmp_lt_i32_e64 s1, 5, v19
	v_cmp_eq_u32_e64 s2, 3, v19
	v_cndmask_b32_e64 v13, 0, 1, vcc_lo
	v_cmp_lt_i32_e32 vcc_lo, 5, v18
	v_lshl_or_b32 v9, v9, 9, 0x7c00
	v_lshl_or_b32 v13, v13, 9, 0x7c00
	s_or_b32 vcc_lo, s0, vcc_lo
	s_mul_i32 s0, s5, 0x134
	v_add_co_ci_u32_e32 v16, vcc_lo, 0, v16, vcc_lo
	s_or_b32 vcc_lo, s2, s1
	s_add_i32 s3, s3, s0
	v_add_co_ci_u32_e32 v11, vcc_lo, 0, v11, vcc_lo
	v_cmp_gt_i32_e32 vcc_lo, 31, v15
	v_cndmask_b32_e32 v16, 0x7c00, v16, vcc_lo
	v_cmp_gt_i32_e32 vcc_lo, 31, v17
	v_cndmask_b32_e32 v11, 0x7c00, v11, vcc_lo
	v_cmp_eq_u32_e32 vcc_lo, 0x40f, v15
	v_cndmask_b32_e32 v9, v16, v9, vcc_lo
	v_cmp_eq_u32_e32 vcc_lo, 0x40f, v17
	v_and_or_b32 v9, 0x8000, v12, v9
	v_cndmask_b32_e32 v11, v11, v13, vcc_lo
	v_add_co_u32 v7, vcc_lo, v7, s4
	v_add_co_ci_u32_e32 v8, vcc_lo, s3, v8, vcc_lo
	v_and_or_b32 v11, 0x8000, v14, v11
	v_and_b32_e32 v9, 0xffff, v9
	v_lshl_or_b32 v9, v11, 16, v9
	v_lshrrev_b32_e32 v11, 16, v10
	global_store_dword v[7:8], v9, off
	global_load_dword v9, v45, s[8:9] offset:616
	s_waitcnt vmcnt(0)
	v_mul_f16_sdwa v12, v11, v9 dst_sel:DWORD dst_unused:UNUSED_PAD src0_sel:DWORD src1_sel:WORD_1
	v_mul_f16_sdwa v13, v10, v9 dst_sel:DWORD dst_unused:UNUSED_PAD src0_sel:DWORD src1_sel:WORD_1
	v_fmac_f16_e32 v12, v10, v9
	v_fma_f16 v9, v9, v11, -v13
	v_cvt_f32_f16_e32 v10, v12
	v_cvt_f32_f16_e32 v11, v9
	v_cvt_f64_f32_e32 v[9:10], v10
	v_cvt_f64_f32_e32 v[11:12], v11
	v_mul_f64 v[9:10], v[9:10], s[12:13]
	v_mul_f64 v[11:12], v[11:12], s[12:13]
	v_and_or_b32 v9, 0x1ff, v10, v9
	v_and_or_b32 v11, 0x1ff, v12, v11
	v_lshrrev_b32_e32 v13, 8, v10
	v_bfe_u32 v14, v10, 20, 11
	v_lshrrev_b32_e32 v15, 8, v12
	v_cmp_ne_u32_e32 vcc_lo, 0, v9
	v_bfe_u32 v16, v12, 20, 11
	v_lshrrev_b32_e32 v10, 16, v10
	v_sub_nc_u32_e32 v17, 0x3f1, v14
	v_add_nc_u32_e32 v14, 0xfffffc10, v14
	v_cndmask_b32_e64 v9, 0, 1, vcc_lo
	v_cmp_ne_u32_e32 vcc_lo, 0, v11
	v_lshrrev_b32_e32 v12, 16, v12
	v_and_or_b32 v9, 0xffe, v13, v9
	v_cndmask_b32_e64 v11, 0, 1, vcc_lo
	v_sub_nc_u32_e32 v13, 0x3f1, v16
	v_add_nc_u32_e32 v16, 0xfffffc10, v16
	v_and_or_b32 v11, 0xffe, v15, v11
	v_med3_i32 v15, v17, 0, 13
	v_or_b32_e32 v17, 0x1000, v9
	v_med3_i32 v13, v13, 0, 13
	v_or_b32_e32 v18, 0x1000, v11
	v_lshrrev_b32_e32 v19, v15, v17
	v_lshrrev_b32_e32 v20, v13, v18
	v_lshlrev_b32_e32 v15, v15, v19
	v_lshlrev_b32_e32 v13, v13, v20
	v_cmp_ne_u32_e32 vcc_lo, v15, v17
	v_lshl_or_b32 v17, v14, 12, v9
	v_cndmask_b32_e64 v15, 0, 1, vcc_lo
	v_cmp_ne_u32_e32 vcc_lo, v13, v18
	v_lshl_or_b32 v18, v16, 12, v11
	v_or_b32_e32 v15, v19, v15
	v_cndmask_b32_e64 v13, 0, 1, vcc_lo
	v_cmp_gt_i32_e32 vcc_lo, 1, v14
	v_or_b32_e32 v13, v20, v13
	v_cndmask_b32_e32 v15, v17, v15, vcc_lo
	v_cmp_gt_i32_e32 vcc_lo, 1, v16
	v_and_b32_e32 v17, 7, v15
	v_cndmask_b32_e32 v13, v18, v13, vcc_lo
	v_cmp_ne_u32_e32 vcc_lo, 0, v9
	v_lshrrev_b32_e32 v15, 2, v15
	v_cmp_eq_u32_e64 s0, 3, v17
	v_and_b32_e32 v18, 7, v13
	v_cndmask_b32_e64 v9, 0, 1, vcc_lo
	v_cmp_ne_u32_e32 vcc_lo, 0, v11
	v_lshrrev_b32_e32 v13, 2, v13
	v_cmp_lt_i32_e64 s1, 5, v18
	v_cmp_eq_u32_e64 s2, 3, v18
	v_cndmask_b32_e64 v11, 0, 1, vcc_lo
	v_cmp_lt_i32_e32 vcc_lo, 5, v17
	v_lshl_or_b32 v9, v9, 9, 0x7c00
	v_lshl_or_b32 v11, v11, 9, 0x7c00
	s_or_b32 vcc_lo, s0, vcc_lo
	v_add_co_ci_u32_e32 v15, vcc_lo, 0, v15, vcc_lo
	s_or_b32 vcc_lo, s2, s1
	v_add_co_ci_u32_e32 v13, vcc_lo, 0, v13, vcc_lo
	v_cmp_gt_i32_e32 vcc_lo, 31, v14
	v_cndmask_b32_e32 v15, 0x7c00, v15, vcc_lo
	v_cmp_gt_i32_e32 vcc_lo, 31, v16
	v_cndmask_b32_e32 v13, 0x7c00, v13, vcc_lo
	v_cmp_eq_u32_e32 vcc_lo, 0x40f, v14
	v_cndmask_b32_e32 v9, v15, v9, vcc_lo
	v_cmp_eq_u32_e32 vcc_lo, 0x40f, v16
	v_and_or_b32 v9, 0x8000, v10, v9
	v_cndmask_b32_e32 v11, v13, v11, vcc_lo
	v_add_co_u32 v7, vcc_lo, v7, s4
	v_add_co_ci_u32_e32 v8, vcc_lo, s3, v8, vcc_lo
	v_and_or_b32 v10, 0x8000, v12, v11
	v_and_b32_e32 v9, 0xffff, v9
	v_lshl_or_b32 v9, v10, 16, v9
	global_store_dword v[7:8], v9, off
	global_load_dword v11, v45, s[8:9] offset:924
	ds_read2_b32 v[9:10], v1 offset0:103 offset1:180
	s_waitcnt lgkmcnt(0)
	v_lshrrev_b32_e32 v1, 16, v9
	s_waitcnt vmcnt(0)
	v_mul_f16_sdwa v12, v1, v11 dst_sel:DWORD dst_unused:UNUSED_PAD src0_sel:DWORD src1_sel:WORD_1
	v_mul_f16_sdwa v13, v9, v11 dst_sel:DWORD dst_unused:UNUSED_PAD src0_sel:DWORD src1_sel:WORD_1
	v_fmac_f16_e32 v12, v9, v11
	v_fma_f16 v1, v11, v1, -v13
	v_cvt_f32_f16_e32 v9, v12
	v_cvt_f32_f16_e32 v1, v1
	v_cvt_f64_f32_e32 v[11:12], v9
	v_cvt_f64_f32_e32 v[13:14], v1
	v_mul_f64 v[11:12], v[11:12], s[12:13]
	v_mul_f64 v[13:14], v[13:14], s[12:13]
	v_and_or_b32 v1, 0x1ff, v12, v11
	v_and_or_b32 v13, 0x1ff, v14, v13
	v_lshrrev_b32_e32 v9, 8, v12
	v_bfe_u32 v11, v12, 20, 11
	v_lshrrev_b32_e32 v15, 8, v14
	v_cmp_ne_u32_e32 vcc_lo, 0, v1
	v_bfe_u32 v16, v14, 20, 11
	v_lshrrev_b32_e32 v12, 16, v12
	v_sub_nc_u32_e32 v17, 0x3f1, v11
	v_add_nc_u32_e32 v11, 0xfffffc10, v11
	v_cndmask_b32_e64 v1, 0, 1, vcc_lo
	v_cmp_ne_u32_e32 vcc_lo, 0, v13
	v_and_or_b32 v1, 0xffe, v9, v1
	v_cndmask_b32_e64 v13, 0, 1, vcc_lo
	v_sub_nc_u32_e32 v9, 0x3f1, v16
	v_add_nc_u32_e32 v16, 0xfffffc10, v16
	v_and_or_b32 v13, 0xffe, v15, v13
	v_med3_i32 v15, v17, 0, 13
	v_or_b32_e32 v17, 0x1000, v1
	v_med3_i32 v9, v9, 0, 13
	v_or_b32_e32 v18, 0x1000, v13
	v_lshrrev_b32_e32 v19, v15, v17
	v_lshrrev_b32_e32 v20, v9, v18
	v_lshlrev_b32_e32 v15, v15, v19
	v_lshlrev_b32_e32 v9, v9, v20
	v_cmp_ne_u32_e32 vcc_lo, v15, v17
	v_lshl_or_b32 v17, v11, 12, v1
	v_cndmask_b32_e64 v15, 0, 1, vcc_lo
	v_cmp_ne_u32_e32 vcc_lo, v9, v18
	v_lshl_or_b32 v18, v16, 12, v13
	v_or_b32_e32 v15, v19, v15
	v_cndmask_b32_e64 v9, 0, 1, vcc_lo
	v_cmp_gt_i32_e32 vcc_lo, 1, v11
	v_or_b32_e32 v9, v20, v9
	v_cndmask_b32_e32 v15, v17, v15, vcc_lo
	v_cmp_gt_i32_e32 vcc_lo, 1, v16
	v_and_b32_e32 v17, 7, v15
	v_cndmask_b32_e32 v9, v18, v9, vcc_lo
	v_cmp_ne_u32_e32 vcc_lo, 0, v1
	v_lshrrev_b32_e32 v15, 2, v15
	v_cmp_eq_u32_e64 s0, 3, v17
	v_and_b32_e32 v18, 7, v9
	v_cndmask_b32_e64 v1, 0, 1, vcc_lo
	v_cmp_ne_u32_e32 vcc_lo, 0, v13
	v_lshrrev_b32_e32 v9, 2, v9
	v_cmp_lt_i32_e64 s1, 5, v18
	v_cmp_eq_u32_e64 s2, 3, v18
	v_cndmask_b32_e64 v13, 0, 1, vcc_lo
	v_cmp_lt_i32_e32 vcc_lo, 5, v17
	v_lshl_or_b32 v1, v1, 9, 0x7c00
	v_lshl_or_b32 v13, v13, 9, 0x7c00
	s_or_b32 vcc_lo, s0, vcc_lo
	v_add_co_ci_u32_e32 v15, vcc_lo, 0, v15, vcc_lo
	s_or_b32 vcc_lo, s2, s1
	v_add_co_ci_u32_e32 v9, vcc_lo, 0, v9, vcc_lo
	v_cmp_gt_i32_e32 vcc_lo, 31, v11
	v_cndmask_b32_e32 v15, 0x7c00, v15, vcc_lo
	v_cmp_gt_i32_e32 vcc_lo, 31, v16
	v_cndmask_b32_e32 v9, 0x7c00, v9, vcc_lo
	v_cmp_eq_u32_e32 vcc_lo, 0x40f, v11
	v_lshrrev_b32_e32 v11, 16, v14
	v_cndmask_b32_e32 v1, v15, v1, vcc_lo
	v_cmp_eq_u32_e32 vcc_lo, 0x40f, v16
	v_and_or_b32 v1, 0x8000, v12, v1
	v_cndmask_b32_e32 v9, v9, v13, vcc_lo
	v_add_co_u32 v7, vcc_lo, v7, s4
	v_add_co_ci_u32_e32 v8, vcc_lo, s3, v8, vcc_lo
	v_and_or_b32 v9, 0x8000, v11, v9
	v_and_b32_e32 v1, 0xffff, v1
	v_lshl_or_b32 v1, v9, 16, v1
	v_lshrrev_b32_e32 v9, 16, v10
	global_store_dword v[7:8], v1, off
	global_load_dword v1, v45, s[8:9] offset:1232
	s_waitcnt vmcnt(0)
	v_mul_f16_sdwa v11, v9, v1 dst_sel:DWORD dst_unused:UNUSED_PAD src0_sel:DWORD src1_sel:WORD_1
	v_mul_f16_sdwa v12, v10, v1 dst_sel:DWORD dst_unused:UNUSED_PAD src0_sel:DWORD src1_sel:WORD_1
	v_fmac_f16_e32 v11, v10, v1
	v_fma_f16 v1, v1, v9, -v12
	v_cvt_f32_f16_e32 v9, v11
	v_cvt_f32_f16_e32 v1, v1
	v_cvt_f64_f32_e32 v[9:10], v9
	v_cvt_f64_f32_e32 v[11:12], v1
	v_mul_f64 v[9:10], v[9:10], s[12:13]
	v_mul_f64 v[11:12], v[11:12], s[12:13]
	v_and_or_b32 v1, 0x1ff, v10, v9
	v_and_or_b32 v11, 0x1ff, v12, v11
	v_lshrrev_b32_e32 v9, 8, v10
	v_bfe_u32 v13, v10, 20, 11
	v_lshrrev_b32_e32 v14, 8, v12
	v_cmp_ne_u32_e32 vcc_lo, 0, v1
	v_bfe_u32 v15, v12, 20, 11
	v_lshrrev_b32_e32 v10, 16, v10
	v_sub_nc_u32_e32 v16, 0x3f1, v13
	v_add_nc_u32_e32 v13, 0xfffffc10, v13
	v_cndmask_b32_e64 v1, 0, 1, vcc_lo
	v_cmp_ne_u32_e32 vcc_lo, 0, v11
	v_lshrrev_b32_e32 v12, 16, v12
	v_and_or_b32 v1, 0xffe, v9, v1
	v_cndmask_b32_e64 v11, 0, 1, vcc_lo
	v_sub_nc_u32_e32 v9, 0x3f1, v15
	v_add_nc_u32_e32 v15, 0xfffffc10, v15
	v_and_or_b32 v11, 0xffe, v14, v11
	v_med3_i32 v14, v16, 0, 13
	v_or_b32_e32 v16, 0x1000, v1
	v_med3_i32 v9, v9, 0, 13
	v_or_b32_e32 v17, 0x1000, v11
	v_lshrrev_b32_e32 v18, v14, v16
	v_lshrrev_b32_e32 v19, v9, v17
	v_lshlrev_b32_e32 v14, v14, v18
	v_lshlrev_b32_e32 v9, v9, v19
	v_cmp_ne_u32_e32 vcc_lo, v14, v16
	v_lshl_or_b32 v16, v13, 12, v1
	v_cndmask_b32_e64 v14, 0, 1, vcc_lo
	v_cmp_ne_u32_e32 vcc_lo, v9, v17
	v_lshl_or_b32 v17, v15, 12, v11
	v_or_b32_e32 v14, v18, v14
	v_cndmask_b32_e64 v9, 0, 1, vcc_lo
	v_cmp_gt_i32_e32 vcc_lo, 1, v13
	v_or_b32_e32 v9, v19, v9
	v_cndmask_b32_e32 v14, v16, v14, vcc_lo
	v_cmp_gt_i32_e32 vcc_lo, 1, v15
	v_and_b32_e32 v16, 7, v14
	v_cndmask_b32_e32 v9, v17, v9, vcc_lo
	v_cmp_ne_u32_e32 vcc_lo, 0, v1
	v_lshrrev_b32_e32 v14, 2, v14
	v_cmp_eq_u32_e64 s0, 3, v16
	v_and_b32_e32 v17, 7, v9
	v_cndmask_b32_e64 v1, 0, 1, vcc_lo
	v_cmp_ne_u32_e32 vcc_lo, 0, v11
	v_lshrrev_b32_e32 v9, 2, v9
	v_cmp_lt_i32_e64 s1, 5, v17
	v_cmp_eq_u32_e64 s2, 3, v17
	v_cndmask_b32_e64 v11, 0, 1, vcc_lo
	v_cmp_lt_i32_e32 vcc_lo, 5, v16
	v_lshl_or_b32 v1, v1, 9, 0x7c00
	v_lshl_or_b32 v11, v11, 9, 0x7c00
	s_or_b32 vcc_lo, s0, vcc_lo
	v_add_co_ci_u32_e32 v14, vcc_lo, 0, v14, vcc_lo
	s_or_b32 vcc_lo, s2, s1
	v_add_co_ci_u32_e32 v9, vcc_lo, 0, v9, vcc_lo
	v_cmp_gt_i32_e32 vcc_lo, 31, v13
	v_cndmask_b32_e32 v14, 0x7c00, v14, vcc_lo
	v_cmp_gt_i32_e32 vcc_lo, 31, v15
	v_cndmask_b32_e32 v9, 0x7c00, v9, vcc_lo
	v_cmp_eq_u32_e32 vcc_lo, 0x40f, v13
	v_cndmask_b32_e32 v1, v14, v1, vcc_lo
	v_cmp_eq_u32_e32 vcc_lo, 0x40f, v15
	v_and_or_b32 v1, 0x8000, v10, v1
	v_cndmask_b32_e32 v9, v9, v11, vcc_lo
	v_add_co_u32 v7, vcc_lo, v7, s4
	v_add_co_ci_u32_e32 v8, vcc_lo, s3, v8, vcc_lo
	v_and_or_b32 v9, 0x8000, v12, v9
	v_and_b32_e32 v1, 0xffff, v1
	v_lshl_or_b32 v1, v9, 16, v1
	global_store_dword v[7:8], v1, off
	global_load_dword v9, v45, s[8:9] offset:1540
	ds_read2_b32 v[0:1], v0 offset0:129 offset1:206
	s_waitcnt lgkmcnt(0)
	v_lshrrev_b32_e32 v10, 16, v0
	s_waitcnt vmcnt(0)
	v_mul_f16_sdwa v11, v10, v9 dst_sel:DWORD dst_unused:UNUSED_PAD src0_sel:DWORD src1_sel:WORD_1
	v_mul_f16_sdwa v12, v0, v9 dst_sel:DWORD dst_unused:UNUSED_PAD src0_sel:DWORD src1_sel:WORD_1
	v_fmac_f16_e32 v11, v0, v9
	v_fma_f16 v0, v9, v10, -v12
	v_cvt_f32_f16_e32 v9, v11
	v_cvt_f32_f16_e32 v0, v0
	v_cvt_f64_f32_e32 v[9:10], v9
	v_cvt_f64_f32_e32 v[11:12], v0
	v_mul_f64 v[9:10], v[9:10], s[12:13]
	v_mul_f64 v[11:12], v[11:12], s[12:13]
	v_and_or_b32 v0, 0x1ff, v10, v9
	v_and_or_b32 v11, 0x1ff, v12, v11
	v_lshrrev_b32_e32 v9, 8, v10
	v_bfe_u32 v13, v10, 20, 11
	v_lshrrev_b32_e32 v14, 8, v12
	v_cmp_ne_u32_e32 vcc_lo, 0, v0
	v_bfe_u32 v15, v12, 20, 11
	v_lshrrev_b32_e32 v10, 16, v10
	v_sub_nc_u32_e32 v16, 0x3f1, v13
	v_add_nc_u32_e32 v13, 0xfffffc10, v13
	v_cndmask_b32_e64 v0, 0, 1, vcc_lo
	v_cmp_ne_u32_e32 vcc_lo, 0, v11
	v_lshrrev_b32_e32 v12, 16, v12
	v_and_or_b32 v0, 0xffe, v9, v0
	v_cndmask_b32_e64 v11, 0, 1, vcc_lo
	v_sub_nc_u32_e32 v9, 0x3f1, v15
	v_add_nc_u32_e32 v15, 0xfffffc10, v15
	v_and_or_b32 v11, 0xffe, v14, v11
	v_med3_i32 v14, v16, 0, 13
	v_or_b32_e32 v16, 0x1000, v0
	v_med3_i32 v9, v9, 0, 13
	v_or_b32_e32 v17, 0x1000, v11
	v_lshrrev_b32_e32 v18, v14, v16
	v_lshrrev_b32_e32 v19, v9, v17
	v_lshlrev_b32_e32 v14, v14, v18
	v_lshlrev_b32_e32 v9, v9, v19
	v_cmp_ne_u32_e32 vcc_lo, v14, v16
	v_lshl_or_b32 v16, v13, 12, v0
	v_cndmask_b32_e64 v14, 0, 1, vcc_lo
	v_cmp_ne_u32_e32 vcc_lo, v9, v17
	v_lshl_or_b32 v17, v15, 12, v11
	v_or_b32_e32 v14, v18, v14
	v_cndmask_b32_e64 v9, 0, 1, vcc_lo
	v_cmp_gt_i32_e32 vcc_lo, 1, v13
	v_or_b32_e32 v9, v19, v9
	v_cndmask_b32_e32 v14, v16, v14, vcc_lo
	v_cmp_gt_i32_e32 vcc_lo, 1, v15
	v_and_b32_e32 v16, 7, v14
	v_cndmask_b32_e32 v9, v17, v9, vcc_lo
	v_cmp_ne_u32_e32 vcc_lo, 0, v0
	v_lshrrev_b32_e32 v14, 2, v14
	v_cmp_eq_u32_e64 s0, 3, v16
	v_and_b32_e32 v17, 7, v9
	v_cndmask_b32_e64 v0, 0, 1, vcc_lo
	v_cmp_ne_u32_e32 vcc_lo, 0, v11
	v_lshrrev_b32_e32 v9, 2, v9
	v_cmp_lt_i32_e64 s1, 5, v17
	v_cmp_eq_u32_e64 s2, 3, v17
	v_cndmask_b32_e64 v11, 0, 1, vcc_lo
	v_cmp_lt_i32_e32 vcc_lo, 5, v16
	v_lshl_or_b32 v0, v0, 9, 0x7c00
	v_lshl_or_b32 v11, v11, 9, 0x7c00
	s_or_b32 vcc_lo, s0, vcc_lo
	v_add_co_ci_u32_e32 v14, vcc_lo, 0, v14, vcc_lo
	s_or_b32 vcc_lo, s2, s1
	v_add_co_ci_u32_e32 v9, vcc_lo, 0, v9, vcc_lo
	v_cmp_gt_i32_e32 vcc_lo, 31, v13
	v_cndmask_b32_e32 v14, 0x7c00, v14, vcc_lo
	v_cmp_gt_i32_e32 vcc_lo, 31, v15
	v_cndmask_b32_e32 v9, 0x7c00, v9, vcc_lo
	v_cmp_eq_u32_e32 vcc_lo, 0x40f, v13
	v_cndmask_b32_e32 v0, v14, v0, vcc_lo
	v_cmp_eq_u32_e32 vcc_lo, 0x40f, v15
	v_and_or_b32 v0, 0x8000, v10, v0
	v_cndmask_b32_e32 v9, v9, v11, vcc_lo
	v_and_b32_e32 v0, 0xffff, v0
	v_and_or_b32 v11, 0x8000, v12, v9
	v_add_co_u32 v9, vcc_lo, v7, s4
	v_add_co_ci_u32_e32 v10, vcc_lo, s3, v8, vcc_lo
	v_lshl_or_b32 v0, v11, 16, v0
	v_lshrrev_b32_e32 v7, 16, v1
	global_store_dword v[9:10], v0, off
	global_load_dword v0, v45, s[8:9] offset:1848
	s_waitcnt vmcnt(0)
	v_mul_f16_sdwa v8, v7, v0 dst_sel:DWORD dst_unused:UNUSED_PAD src0_sel:DWORD src1_sel:WORD_1
	v_mul_f16_sdwa v11, v1, v0 dst_sel:DWORD dst_unused:UNUSED_PAD src0_sel:DWORD src1_sel:WORD_1
	v_fmac_f16_e32 v8, v1, v0
	v_fma_f16 v0, v0, v7, -v11
	v_cvt_f32_f16_e32 v1, v8
	v_cvt_f32_f16_e32 v7, v0
	v_cvt_f64_f32_e32 v[0:1], v1
	v_cvt_f64_f32_e32 v[7:8], v7
	v_mul_f64 v[0:1], v[0:1], s[12:13]
	v_mul_f64 v[7:8], v[7:8], s[12:13]
	v_and_or_b32 v0, 0x1ff, v1, v0
	v_and_or_b32 v7, 0x1ff, v8, v7
	v_lshrrev_b32_e32 v11, 8, v1
	v_bfe_u32 v12, v1, 20, 11
	v_lshrrev_b32_e32 v13, 8, v8
	v_cmp_ne_u32_e32 vcc_lo, 0, v0
	v_bfe_u32 v14, v8, 20, 11
	v_lshrrev_b32_e32 v1, 16, v1
	v_sub_nc_u32_e32 v15, 0x3f1, v12
	v_add_nc_u32_e32 v12, 0xfffffc10, v12
	v_cndmask_b32_e64 v0, 0, 1, vcc_lo
	v_cmp_ne_u32_e32 vcc_lo, 0, v7
	v_and_or_b32 v0, 0xffe, v11, v0
	v_cndmask_b32_e64 v7, 0, 1, vcc_lo
	v_sub_nc_u32_e32 v11, 0x3f1, v14
	v_add_nc_u32_e32 v14, 0xfffffc10, v14
	v_and_or_b32 v7, 0xffe, v13, v7
	v_med3_i32 v13, v15, 0, 13
	v_or_b32_e32 v15, 0x1000, v0
	v_med3_i32 v11, v11, 0, 13
	v_or_b32_e32 v16, 0x1000, v7
	v_lshrrev_b32_e32 v17, v13, v15
	v_lshrrev_b32_e32 v18, v11, v16
	v_lshlrev_b32_e32 v13, v13, v17
	v_lshlrev_b32_e32 v11, v11, v18
	v_cmp_ne_u32_e32 vcc_lo, v13, v15
	v_lshl_or_b32 v15, v12, 12, v0
	v_cndmask_b32_e64 v13, 0, 1, vcc_lo
	v_cmp_ne_u32_e32 vcc_lo, v11, v16
	v_lshl_or_b32 v16, v14, 12, v7
	v_or_b32_e32 v13, v17, v13
	v_cndmask_b32_e64 v11, 0, 1, vcc_lo
	v_cmp_gt_i32_e32 vcc_lo, 1, v12
	v_or_b32_e32 v11, v18, v11
	v_cndmask_b32_e32 v13, v15, v13, vcc_lo
	v_cmp_gt_i32_e32 vcc_lo, 1, v14
	v_and_b32_e32 v15, 7, v13
	v_cndmask_b32_e32 v11, v16, v11, vcc_lo
	v_cmp_ne_u32_e32 vcc_lo, 0, v0
	v_lshrrev_b32_e32 v13, 2, v13
	v_cmp_eq_u32_e64 s0, 3, v15
	v_and_b32_e32 v16, 7, v11
	v_cndmask_b32_e64 v0, 0, 1, vcc_lo
	v_cmp_ne_u32_e32 vcc_lo, 0, v7
	v_lshrrev_b32_e32 v11, 2, v11
	v_cmp_lt_i32_e64 s1, 5, v16
	v_cmp_eq_u32_e64 s2, 3, v16
	v_cndmask_b32_e64 v7, 0, 1, vcc_lo
	v_cmp_lt_i32_e32 vcc_lo, 5, v15
	v_lshl_or_b32 v0, v0, 9, 0x7c00
	v_lshl_or_b32 v7, v7, 9, 0x7c00
	s_or_b32 vcc_lo, s0, vcc_lo
	v_add_co_ci_u32_e32 v13, vcc_lo, 0, v13, vcc_lo
	s_or_b32 vcc_lo, s2, s1
	v_add_co_ci_u32_e32 v11, vcc_lo, 0, v11, vcc_lo
	v_cmp_gt_i32_e32 vcc_lo, 31, v12
	v_cndmask_b32_e32 v13, 0x7c00, v13, vcc_lo
	v_cmp_gt_i32_e32 vcc_lo, 31, v14
	v_cndmask_b32_e32 v11, 0x7c00, v11, vcc_lo
	v_cmp_eq_u32_e32 vcc_lo, 0x40f, v12
	v_lshrrev_b32_e32 v12, 16, v8
	v_cndmask_b32_e32 v0, v13, v0, vcc_lo
	v_cmp_eq_u32_e32 vcc_lo, 0x40f, v14
	v_and_or_b32 v0, 0x8000, v1, v0
	v_cndmask_b32_e32 v11, v11, v7, vcc_lo
	v_add_co_u32 v7, s0, s8, v45
	v_add_co_ci_u32_e64 v8, null, s9, 0, s0
	v_and_or_b32 v1, 0x8000, v12, v11
	v_and_b32_e32 v0, 0xffff, v0
	v_add_co_u32 v9, vcc_lo, v9, s4
	v_add_co_ci_u32_e32 v10, vcc_lo, s3, v10, vcc_lo
	v_lshl_or_b32 v11, v1, 16, v0
	v_add_co_u32 v0, vcc_lo, 0x800, v7
	v_add_co_ci_u32_e32 v1, vcc_lo, 0, v8, vcc_lo
	global_store_dword v[9:10], v11, off
	ds_read2_b32 v[11:12], v5 offset0:27 offset1:104
	global_load_dword v13, v[0:1], off offset:108
	s_waitcnt lgkmcnt(0)
	v_lshrrev_b32_e32 v5, 16, v11
	s_waitcnt vmcnt(0)
	v_mul_f16_sdwa v14, v5, v13 dst_sel:DWORD dst_unused:UNUSED_PAD src0_sel:DWORD src1_sel:WORD_1
	v_mul_f16_sdwa v15, v11, v13 dst_sel:DWORD dst_unused:UNUSED_PAD src0_sel:DWORD src1_sel:WORD_1
	v_fmac_f16_e32 v14, v11, v13
	v_fma_f16 v5, v13, v5, -v15
	v_cvt_f32_f16_e32 v11, v14
	v_cvt_f32_f16_e32 v5, v5
	v_cvt_f64_f32_e32 v[13:14], v11
	v_cvt_f64_f32_e32 v[15:16], v5
	v_mul_f64 v[13:14], v[13:14], s[12:13]
	v_mul_f64 v[15:16], v[15:16], s[12:13]
	v_and_or_b32 v5, 0x1ff, v14, v13
	v_and_or_b32 v15, 0x1ff, v16, v15
	v_lshrrev_b32_e32 v11, 8, v14
	v_bfe_u32 v13, v14, 20, 11
	v_lshrrev_b32_e32 v17, 8, v16
	v_cmp_ne_u32_e32 vcc_lo, 0, v5
	v_bfe_u32 v18, v16, 20, 11
	v_lshrrev_b32_e32 v14, 16, v14
	v_sub_nc_u32_e32 v19, 0x3f1, v13
	v_add_nc_u32_e32 v13, 0xfffffc10, v13
	v_cndmask_b32_e64 v5, 0, 1, vcc_lo
	v_cmp_ne_u32_e32 vcc_lo, 0, v15
	v_and_or_b32 v5, 0xffe, v11, v5
	v_cndmask_b32_e64 v15, 0, 1, vcc_lo
	v_sub_nc_u32_e32 v11, 0x3f1, v18
	v_add_nc_u32_e32 v18, 0xfffffc10, v18
	v_and_or_b32 v15, 0xffe, v17, v15
	v_med3_i32 v17, v19, 0, 13
	v_or_b32_e32 v19, 0x1000, v5
	v_med3_i32 v11, v11, 0, 13
	v_or_b32_e32 v20, 0x1000, v15
	v_lshrrev_b32_e32 v21, v17, v19
	v_lshrrev_b32_e32 v22, v11, v20
	v_lshlrev_b32_e32 v17, v17, v21
	v_lshlrev_b32_e32 v11, v11, v22
	v_cmp_ne_u32_e32 vcc_lo, v17, v19
	v_lshl_or_b32 v19, v13, 12, v5
	v_cndmask_b32_e64 v17, 0, 1, vcc_lo
	v_cmp_ne_u32_e32 vcc_lo, v11, v20
	v_lshl_or_b32 v20, v18, 12, v15
	v_or_b32_e32 v17, v21, v17
	v_cndmask_b32_e64 v11, 0, 1, vcc_lo
	v_cmp_gt_i32_e32 vcc_lo, 1, v13
	v_or_b32_e32 v11, v22, v11
	v_cndmask_b32_e32 v17, v19, v17, vcc_lo
	v_cmp_gt_i32_e32 vcc_lo, 1, v18
	v_and_b32_e32 v19, 7, v17
	v_cndmask_b32_e32 v11, v20, v11, vcc_lo
	v_cmp_ne_u32_e32 vcc_lo, 0, v5
	v_lshrrev_b32_e32 v17, 2, v17
	v_cmp_eq_u32_e64 s0, 3, v19
	v_and_b32_e32 v20, 7, v11
	v_cndmask_b32_e64 v5, 0, 1, vcc_lo
	v_cmp_ne_u32_e32 vcc_lo, 0, v15
	v_lshrrev_b32_e32 v11, 2, v11
	v_cmp_lt_i32_e64 s1, 5, v20
	v_cmp_eq_u32_e64 s2, 3, v20
	v_cndmask_b32_e64 v15, 0, 1, vcc_lo
	v_cmp_lt_i32_e32 vcc_lo, 5, v19
	v_lshl_or_b32 v5, v5, 9, 0x7c00
	v_lshl_or_b32 v15, v15, 9, 0x7c00
	s_or_b32 vcc_lo, s0, vcc_lo
	v_add_co_ci_u32_e32 v17, vcc_lo, 0, v17, vcc_lo
	s_or_b32 vcc_lo, s2, s1
	v_add_co_ci_u32_e32 v11, vcc_lo, 0, v11, vcc_lo
	v_cmp_gt_i32_e32 vcc_lo, 31, v13
	v_cndmask_b32_e32 v17, 0x7c00, v17, vcc_lo
	v_cmp_gt_i32_e32 vcc_lo, 31, v18
	v_cndmask_b32_e32 v11, 0x7c00, v11, vcc_lo
	v_cmp_eq_u32_e32 vcc_lo, 0x40f, v13
	v_lshrrev_b32_e32 v13, 16, v16
	v_cndmask_b32_e32 v5, v17, v5, vcc_lo
	v_cmp_eq_u32_e32 vcc_lo, 0x40f, v18
	v_and_or_b32 v5, 0x8000, v14, v5
	v_cndmask_b32_e32 v11, v11, v15, vcc_lo
	v_add_co_u32 v9, vcc_lo, v9, s4
	v_add_co_ci_u32_e32 v10, vcc_lo, s3, v10, vcc_lo
	v_and_or_b32 v11, 0x8000, v13, v11
	v_and_b32_e32 v5, 0xffff, v5
	v_lshl_or_b32 v5, v11, 16, v5
	v_lshrrev_b32_e32 v11, 16, v12
	global_store_dword v[9:10], v5, off
	global_load_dword v5, v[0:1], off offset:416
	s_waitcnt vmcnt(0)
	v_mul_f16_sdwa v13, v11, v5 dst_sel:DWORD dst_unused:UNUSED_PAD src0_sel:DWORD src1_sel:WORD_1
	v_mul_f16_sdwa v14, v12, v5 dst_sel:DWORD dst_unused:UNUSED_PAD src0_sel:DWORD src1_sel:WORD_1
	v_fmac_f16_e32 v13, v12, v5
	v_fma_f16 v5, v5, v11, -v14
	v_cvt_f32_f16_e32 v11, v13
	v_cvt_f32_f16_e32 v5, v5
	v_cvt_f64_f32_e32 v[11:12], v11
	v_cvt_f64_f32_e32 v[13:14], v5
	v_mul_f64 v[11:12], v[11:12], s[12:13]
	v_mul_f64 v[13:14], v[13:14], s[12:13]
	v_and_or_b32 v5, 0x1ff, v12, v11
	v_and_or_b32 v13, 0x1ff, v14, v13
	v_lshrrev_b32_e32 v11, 8, v12
	v_bfe_u32 v15, v12, 20, 11
	v_lshrrev_b32_e32 v16, 8, v14
	v_cmp_ne_u32_e32 vcc_lo, 0, v5
	v_bfe_u32 v17, v14, 20, 11
	v_lshrrev_b32_e32 v12, 16, v12
	v_sub_nc_u32_e32 v18, 0x3f1, v15
	v_add_nc_u32_e32 v15, 0xfffffc10, v15
	v_cndmask_b32_e64 v5, 0, 1, vcc_lo
	v_cmp_ne_u32_e32 vcc_lo, 0, v13
	v_lshrrev_b32_e32 v14, 16, v14
	v_and_or_b32 v5, 0xffe, v11, v5
	v_cndmask_b32_e64 v13, 0, 1, vcc_lo
	v_sub_nc_u32_e32 v11, 0x3f1, v17
	v_add_nc_u32_e32 v17, 0xfffffc10, v17
	v_and_or_b32 v13, 0xffe, v16, v13
	v_med3_i32 v16, v18, 0, 13
	v_or_b32_e32 v18, 0x1000, v5
	v_med3_i32 v11, v11, 0, 13
	v_or_b32_e32 v19, 0x1000, v13
	v_lshrrev_b32_e32 v20, v16, v18
	v_lshrrev_b32_e32 v21, v11, v19
	v_lshlrev_b32_e32 v16, v16, v20
	v_lshlrev_b32_e32 v11, v11, v21
	v_cmp_ne_u32_e32 vcc_lo, v16, v18
	v_lshl_or_b32 v18, v15, 12, v5
	v_cndmask_b32_e64 v16, 0, 1, vcc_lo
	v_cmp_ne_u32_e32 vcc_lo, v11, v19
	v_lshl_or_b32 v19, v17, 12, v13
	v_or_b32_e32 v16, v20, v16
	v_cndmask_b32_e64 v11, 0, 1, vcc_lo
	v_cmp_gt_i32_e32 vcc_lo, 1, v15
	v_or_b32_e32 v11, v21, v11
	v_cndmask_b32_e32 v16, v18, v16, vcc_lo
	v_cmp_gt_i32_e32 vcc_lo, 1, v17
	v_and_b32_e32 v18, 7, v16
	v_cndmask_b32_e32 v11, v19, v11, vcc_lo
	v_cmp_ne_u32_e32 vcc_lo, 0, v5
	v_lshrrev_b32_e32 v16, 2, v16
	v_cmp_eq_u32_e64 s0, 3, v18
	v_and_b32_e32 v19, 7, v11
	v_cndmask_b32_e64 v5, 0, 1, vcc_lo
	v_cmp_ne_u32_e32 vcc_lo, 0, v13
	v_lshrrev_b32_e32 v11, 2, v11
	v_cmp_lt_i32_e64 s1, 5, v19
	v_cmp_eq_u32_e64 s2, 3, v19
	v_cndmask_b32_e64 v13, 0, 1, vcc_lo
	v_cmp_lt_i32_e32 vcc_lo, 5, v18
	v_lshl_or_b32 v5, v5, 9, 0x7c00
	v_lshl_or_b32 v13, v13, 9, 0x7c00
	s_or_b32 vcc_lo, s0, vcc_lo
	v_add_co_ci_u32_e32 v16, vcc_lo, 0, v16, vcc_lo
	s_or_b32 vcc_lo, s2, s1
	v_add_co_ci_u32_e32 v11, vcc_lo, 0, v11, vcc_lo
	v_cmp_gt_i32_e32 vcc_lo, 31, v15
	v_cndmask_b32_e32 v16, 0x7c00, v16, vcc_lo
	v_cmp_gt_i32_e32 vcc_lo, 31, v17
	v_cndmask_b32_e32 v11, 0x7c00, v11, vcc_lo
	v_cmp_eq_u32_e32 vcc_lo, 0x40f, v15
	v_cndmask_b32_e32 v5, v16, v5, vcc_lo
	v_cmp_eq_u32_e32 vcc_lo, 0x40f, v17
	v_and_or_b32 v5, 0x8000, v12, v5
	v_cndmask_b32_e32 v11, v11, v13, vcc_lo
	v_add_co_u32 v9, vcc_lo, v9, s4
	v_add_co_ci_u32_e32 v10, vcc_lo, s3, v10, vcc_lo
	v_and_or_b32 v11, 0x8000, v14, v11
	v_and_b32_e32 v5, 0xffff, v5
	v_lshl_or_b32 v5, v11, 16, v5
	global_store_dword v[9:10], v5, off
	global_load_dword v11, v[0:1], off offset:724
	ds_read2_b32 v[5:6], v6 offset0:53 offset1:130
	s_waitcnt lgkmcnt(0)
	v_lshrrev_b32_e32 v12, 16, v5
	s_waitcnt vmcnt(0)
	v_mul_f16_sdwa v13, v12, v11 dst_sel:DWORD dst_unused:UNUSED_PAD src0_sel:DWORD src1_sel:WORD_1
	v_mul_f16_sdwa v14, v5, v11 dst_sel:DWORD dst_unused:UNUSED_PAD src0_sel:DWORD src1_sel:WORD_1
	v_fmac_f16_e32 v13, v5, v11
	v_fma_f16 v5, v11, v12, -v14
	v_cvt_f32_f16_e32 v11, v13
	v_cvt_f32_f16_e32 v5, v5
	v_cvt_f64_f32_e32 v[11:12], v11
	v_cvt_f64_f32_e32 v[13:14], v5
	v_mul_f64 v[11:12], v[11:12], s[12:13]
	v_mul_f64 v[13:14], v[13:14], s[12:13]
	v_and_or_b32 v5, 0x1ff, v12, v11
	v_and_or_b32 v13, 0x1ff, v14, v13
	v_lshrrev_b32_e32 v11, 8, v12
	v_bfe_u32 v15, v12, 20, 11
	v_lshrrev_b32_e32 v16, 8, v14
	v_cmp_ne_u32_e32 vcc_lo, 0, v5
	v_bfe_u32 v17, v14, 20, 11
	v_lshrrev_b32_e32 v12, 16, v12
	v_sub_nc_u32_e32 v18, 0x3f1, v15
	v_add_nc_u32_e32 v15, 0xfffffc10, v15
	v_cndmask_b32_e64 v5, 0, 1, vcc_lo
	v_cmp_ne_u32_e32 vcc_lo, 0, v13
	v_lshrrev_b32_e32 v14, 16, v14
	v_and_or_b32 v5, 0xffe, v11, v5
	v_cndmask_b32_e64 v13, 0, 1, vcc_lo
	v_sub_nc_u32_e32 v11, 0x3f1, v17
	v_add_nc_u32_e32 v17, 0xfffffc10, v17
	v_and_or_b32 v13, 0xffe, v16, v13
	v_med3_i32 v16, v18, 0, 13
	v_or_b32_e32 v18, 0x1000, v5
	v_med3_i32 v11, v11, 0, 13
	v_or_b32_e32 v19, 0x1000, v13
	v_lshrrev_b32_e32 v20, v16, v18
	v_lshrrev_b32_e32 v21, v11, v19
	v_lshlrev_b32_e32 v16, v16, v20
	v_lshlrev_b32_e32 v11, v11, v21
	v_cmp_ne_u32_e32 vcc_lo, v16, v18
	v_lshl_or_b32 v18, v15, 12, v5
	v_cndmask_b32_e64 v16, 0, 1, vcc_lo
	v_cmp_ne_u32_e32 vcc_lo, v11, v19
	v_lshl_or_b32 v19, v17, 12, v13
	v_or_b32_e32 v16, v20, v16
	v_cndmask_b32_e64 v11, 0, 1, vcc_lo
	v_cmp_gt_i32_e32 vcc_lo, 1, v15
	v_or_b32_e32 v11, v21, v11
	v_cndmask_b32_e32 v16, v18, v16, vcc_lo
	v_cmp_gt_i32_e32 vcc_lo, 1, v17
	v_and_b32_e32 v18, 7, v16
	v_cndmask_b32_e32 v11, v19, v11, vcc_lo
	v_cmp_ne_u32_e32 vcc_lo, 0, v5
	v_lshrrev_b32_e32 v16, 2, v16
	v_cmp_eq_u32_e64 s0, 3, v18
	v_and_b32_e32 v19, 7, v11
	v_cndmask_b32_e64 v5, 0, 1, vcc_lo
	v_cmp_ne_u32_e32 vcc_lo, 0, v13
	v_lshrrev_b32_e32 v11, 2, v11
	v_cmp_lt_i32_e64 s1, 5, v19
	v_cmp_eq_u32_e64 s2, 3, v19
	v_cndmask_b32_e64 v13, 0, 1, vcc_lo
	v_cmp_lt_i32_e32 vcc_lo, 5, v18
	v_lshl_or_b32 v5, v5, 9, 0x7c00
	v_lshl_or_b32 v13, v13, 9, 0x7c00
	s_or_b32 vcc_lo, s0, vcc_lo
	v_add_co_ci_u32_e32 v16, vcc_lo, 0, v16, vcc_lo
	s_or_b32 vcc_lo, s2, s1
	v_add_co_ci_u32_e32 v11, vcc_lo, 0, v11, vcc_lo
	v_cmp_gt_i32_e32 vcc_lo, 31, v15
	v_cndmask_b32_e32 v16, 0x7c00, v16, vcc_lo
	v_cmp_gt_i32_e32 vcc_lo, 31, v17
	v_cndmask_b32_e32 v11, 0x7c00, v11, vcc_lo
	v_cmp_eq_u32_e32 vcc_lo, 0x40f, v15
	v_cndmask_b32_e32 v5, v16, v5, vcc_lo
	v_cmp_eq_u32_e32 vcc_lo, 0x40f, v17
	v_and_or_b32 v5, 0x8000, v12, v5
	v_cndmask_b32_e32 v11, v11, v13, vcc_lo
	v_add_co_u32 v9, vcc_lo, v9, s4
	v_add_co_ci_u32_e32 v10, vcc_lo, s3, v10, vcc_lo
	v_and_or_b32 v11, 0x8000, v14, v11
	v_and_b32_e32 v5, 0xffff, v5
	v_lshl_or_b32 v5, v11, 16, v5
	v_lshrrev_b32_e32 v11, 16, v6
	global_store_dword v[9:10], v5, off
	global_load_dword v5, v[0:1], off offset:1032
	s_waitcnt vmcnt(0)
	v_mul_f16_sdwa v12, v11, v5 dst_sel:DWORD dst_unused:UNUSED_PAD src0_sel:DWORD src1_sel:WORD_1
	v_mul_f16_sdwa v13, v6, v5 dst_sel:DWORD dst_unused:UNUSED_PAD src0_sel:DWORD src1_sel:WORD_1
	v_fmac_f16_e32 v12, v6, v5
	v_fma_f16 v5, v5, v11, -v13
	v_cvt_f32_f16_e32 v6, v12
	v_cvt_f32_f16_e32 v11, v5
	v_cvt_f64_f32_e32 v[5:6], v6
	v_cvt_f64_f32_e32 v[11:12], v11
	v_mul_f64 v[5:6], v[5:6], s[12:13]
	v_mul_f64 v[11:12], v[11:12], s[12:13]
	v_and_or_b32 v5, 0x1ff, v6, v5
	v_and_or_b32 v11, 0x1ff, v12, v11
	v_lshrrev_b32_e32 v13, 8, v6
	v_bfe_u32 v14, v6, 20, 11
	v_lshrrev_b32_e32 v15, 8, v12
	v_cmp_ne_u32_e32 vcc_lo, 0, v5
	v_bfe_u32 v16, v12, 20, 11
	v_lshrrev_b32_e32 v6, 16, v6
	v_sub_nc_u32_e32 v17, 0x3f1, v14
	v_add_nc_u32_e32 v14, 0xfffffc10, v14
	v_cndmask_b32_e64 v5, 0, 1, vcc_lo
	v_cmp_ne_u32_e32 vcc_lo, 0, v11
	v_lshrrev_b32_e32 v12, 16, v12
	v_and_or_b32 v5, 0xffe, v13, v5
	v_cndmask_b32_e64 v11, 0, 1, vcc_lo
	v_sub_nc_u32_e32 v13, 0x3f1, v16
	v_add_nc_u32_e32 v16, 0xfffffc10, v16
	v_and_or_b32 v11, 0xffe, v15, v11
	v_med3_i32 v15, v17, 0, 13
	v_or_b32_e32 v17, 0x1000, v5
	v_med3_i32 v13, v13, 0, 13
	v_or_b32_e32 v18, 0x1000, v11
	v_lshrrev_b32_e32 v19, v15, v17
	v_lshrrev_b32_e32 v20, v13, v18
	v_lshlrev_b32_e32 v15, v15, v19
	v_lshlrev_b32_e32 v13, v13, v20
	v_cmp_ne_u32_e32 vcc_lo, v15, v17
	v_lshl_or_b32 v17, v14, 12, v5
	v_cndmask_b32_e64 v15, 0, 1, vcc_lo
	v_cmp_ne_u32_e32 vcc_lo, v13, v18
	v_lshl_or_b32 v18, v16, 12, v11
	v_or_b32_e32 v15, v19, v15
	v_cndmask_b32_e64 v13, 0, 1, vcc_lo
	v_cmp_gt_i32_e32 vcc_lo, 1, v14
	v_or_b32_e32 v13, v20, v13
	v_cndmask_b32_e32 v15, v17, v15, vcc_lo
	v_cmp_gt_i32_e32 vcc_lo, 1, v16
	v_and_b32_e32 v17, 7, v15
	v_cndmask_b32_e32 v13, v18, v13, vcc_lo
	v_cmp_ne_u32_e32 vcc_lo, 0, v5
	v_lshrrev_b32_e32 v15, 2, v15
	v_cmp_eq_u32_e64 s0, 3, v17
	v_and_b32_e32 v18, 7, v13
	v_cndmask_b32_e64 v5, 0, 1, vcc_lo
	v_cmp_ne_u32_e32 vcc_lo, 0, v11
	v_lshrrev_b32_e32 v13, 2, v13
	v_cmp_lt_i32_e64 s1, 5, v18
	v_cmp_eq_u32_e64 s2, 3, v18
	v_cndmask_b32_e64 v11, 0, 1, vcc_lo
	v_cmp_lt_i32_e32 vcc_lo, 5, v17
	v_lshl_or_b32 v5, v5, 9, 0x7c00
	v_lshl_or_b32 v11, v11, 9, 0x7c00
	s_or_b32 vcc_lo, s0, vcc_lo
	v_add_co_ci_u32_e32 v15, vcc_lo, 0, v15, vcc_lo
	s_or_b32 vcc_lo, s2, s1
	v_add_co_ci_u32_e32 v13, vcc_lo, 0, v13, vcc_lo
	v_cmp_gt_i32_e32 vcc_lo, 31, v14
	v_cndmask_b32_e32 v15, 0x7c00, v15, vcc_lo
	v_cmp_gt_i32_e32 vcc_lo, 31, v16
	v_cndmask_b32_e32 v13, 0x7c00, v13, vcc_lo
	v_cmp_eq_u32_e32 vcc_lo, 0x40f, v14
	v_cndmask_b32_e32 v5, v15, v5, vcc_lo
	v_cmp_eq_u32_e32 vcc_lo, 0x40f, v16
	v_and_or_b32 v5, 0x8000, v6, v5
	v_cndmask_b32_e32 v11, v13, v11, vcc_lo
	v_and_or_b32 v11, 0x8000, v12, v11
	v_and_b32_e32 v12, 0xffff, v5
	v_add_co_u32 v5, vcc_lo, v9, s4
	v_add_co_ci_u32_e32 v6, vcc_lo, s3, v10, vcc_lo
	v_lshl_or_b32 v9, v11, 16, v12
	global_store_dword v[5:6], v9, off
	global_load_dword v11, v[0:1], off offset:1340
	ds_read2_b32 v[9:10], v3 offset0:79 offset1:156
	s_waitcnt lgkmcnt(0)
	v_lshrrev_b32_e32 v3, 16, v9
	s_waitcnt vmcnt(0)
	v_mul_f16_sdwa v12, v3, v11 dst_sel:DWORD dst_unused:UNUSED_PAD src0_sel:DWORD src1_sel:WORD_1
	v_mul_f16_sdwa v13, v9, v11 dst_sel:DWORD dst_unused:UNUSED_PAD src0_sel:DWORD src1_sel:WORD_1
	v_fmac_f16_e32 v12, v9, v11
	v_fma_f16 v3, v11, v3, -v13
	v_cvt_f32_f16_e32 v9, v12
	v_cvt_f32_f16_e32 v3, v3
	v_cvt_f64_f32_e32 v[11:12], v9
	v_cvt_f64_f32_e32 v[13:14], v3
	v_mul_f64 v[11:12], v[11:12], s[12:13]
	v_mul_f64 v[13:14], v[13:14], s[12:13]
	v_and_or_b32 v3, 0x1ff, v12, v11
	v_and_or_b32 v13, 0x1ff, v14, v13
	v_lshrrev_b32_e32 v9, 8, v12
	v_bfe_u32 v11, v12, 20, 11
	v_lshrrev_b32_e32 v15, 8, v14
	v_cmp_ne_u32_e32 vcc_lo, 0, v3
	v_bfe_u32 v16, v14, 20, 11
	v_lshrrev_b32_e32 v12, 16, v12
	v_sub_nc_u32_e32 v17, 0x3f1, v11
	v_add_nc_u32_e32 v11, 0xfffffc10, v11
	v_cndmask_b32_e64 v3, 0, 1, vcc_lo
	v_cmp_ne_u32_e32 vcc_lo, 0, v13
	v_and_or_b32 v3, 0xffe, v9, v3
	v_cndmask_b32_e64 v13, 0, 1, vcc_lo
	v_sub_nc_u32_e32 v9, 0x3f1, v16
	v_add_nc_u32_e32 v16, 0xfffffc10, v16
	v_and_or_b32 v13, 0xffe, v15, v13
	v_med3_i32 v15, v17, 0, 13
	v_or_b32_e32 v17, 0x1000, v3
	v_med3_i32 v9, v9, 0, 13
	v_or_b32_e32 v18, 0x1000, v13
	v_lshrrev_b32_e32 v19, v15, v17
	v_lshrrev_b32_e32 v20, v9, v18
	v_lshlrev_b32_e32 v15, v15, v19
	v_lshlrev_b32_e32 v9, v9, v20
	v_cmp_ne_u32_e32 vcc_lo, v15, v17
	v_lshl_or_b32 v17, v11, 12, v3
	v_cndmask_b32_e64 v15, 0, 1, vcc_lo
	v_cmp_ne_u32_e32 vcc_lo, v9, v18
	v_lshl_or_b32 v18, v16, 12, v13
	v_or_b32_e32 v15, v19, v15
	v_cndmask_b32_e64 v9, 0, 1, vcc_lo
	v_cmp_gt_i32_e32 vcc_lo, 1, v11
	v_or_b32_e32 v9, v20, v9
	v_cndmask_b32_e32 v15, v17, v15, vcc_lo
	v_cmp_gt_i32_e32 vcc_lo, 1, v16
	v_and_b32_e32 v17, 7, v15
	v_cndmask_b32_e32 v9, v18, v9, vcc_lo
	v_cmp_ne_u32_e32 vcc_lo, 0, v3
	v_lshrrev_b32_e32 v15, 2, v15
	v_cmp_eq_u32_e64 s0, 3, v17
	v_and_b32_e32 v18, 7, v9
	v_cndmask_b32_e64 v3, 0, 1, vcc_lo
	v_cmp_ne_u32_e32 vcc_lo, 0, v13
	v_lshrrev_b32_e32 v9, 2, v9
	v_cmp_lt_i32_e64 s1, 5, v18
	v_cmp_eq_u32_e64 s2, 3, v18
	v_cndmask_b32_e64 v13, 0, 1, vcc_lo
	v_cmp_lt_i32_e32 vcc_lo, 5, v17
	v_lshl_or_b32 v3, v3, 9, 0x7c00
	v_lshl_or_b32 v13, v13, 9, 0x7c00
	s_or_b32 vcc_lo, s0, vcc_lo
	v_add_co_ci_u32_e32 v15, vcc_lo, 0, v15, vcc_lo
	s_or_b32 vcc_lo, s2, s1
	v_add_co_ci_u32_e32 v9, vcc_lo, 0, v9, vcc_lo
	v_cmp_gt_i32_e32 vcc_lo, 31, v11
	v_cndmask_b32_e32 v15, 0x7c00, v15, vcc_lo
	v_cmp_gt_i32_e32 vcc_lo, 31, v16
	v_cndmask_b32_e32 v9, 0x7c00, v9, vcc_lo
	v_cmp_eq_u32_e32 vcc_lo, 0x40f, v11
	v_lshrrev_b32_e32 v11, 16, v14
	v_cndmask_b32_e32 v3, v15, v3, vcc_lo
	v_cmp_eq_u32_e32 vcc_lo, 0x40f, v16
	v_and_or_b32 v3, 0x8000, v12, v3
	v_cndmask_b32_e32 v9, v9, v13, vcc_lo
	v_add_co_u32 v5, vcc_lo, v5, s4
	v_add_co_ci_u32_e32 v6, vcc_lo, s3, v6, vcc_lo
	v_and_or_b32 v9, 0x8000, v11, v9
	v_and_b32_e32 v3, 0xffff, v3
	v_lshl_or_b32 v3, v9, 16, v3
	v_lshrrev_b32_e32 v9, 16, v10
	global_store_dword v[5:6], v3, off
	global_load_dword v3, v[0:1], off offset:1648
	s_waitcnt vmcnt(0)
	v_mul_f16_sdwa v11, v9, v3 dst_sel:DWORD dst_unused:UNUSED_PAD src0_sel:DWORD src1_sel:WORD_1
	v_mul_f16_sdwa v12, v10, v3 dst_sel:DWORD dst_unused:UNUSED_PAD src0_sel:DWORD src1_sel:WORD_1
	v_fmac_f16_e32 v11, v10, v3
	v_fma_f16 v3, v3, v9, -v12
	v_cvt_f32_f16_e32 v9, v11
	v_cvt_f32_f16_e32 v3, v3
	v_cvt_f64_f32_e32 v[9:10], v9
	v_cvt_f64_f32_e32 v[11:12], v3
	v_mul_f64 v[9:10], v[9:10], s[12:13]
	v_mul_f64 v[11:12], v[11:12], s[12:13]
	v_and_or_b32 v3, 0x1ff, v10, v9
	v_and_or_b32 v11, 0x1ff, v12, v11
	v_lshrrev_b32_e32 v9, 8, v10
	v_bfe_u32 v13, v10, 20, 11
	v_lshrrev_b32_e32 v14, 8, v12
	v_cmp_ne_u32_e32 vcc_lo, 0, v3
	v_bfe_u32 v15, v12, 20, 11
	v_lshrrev_b32_e32 v10, 16, v10
	v_sub_nc_u32_e32 v16, 0x3f1, v13
	v_add_nc_u32_e32 v13, 0xfffffc10, v13
	v_cndmask_b32_e64 v3, 0, 1, vcc_lo
	v_cmp_ne_u32_e32 vcc_lo, 0, v11
	v_lshrrev_b32_e32 v12, 16, v12
	v_and_or_b32 v3, 0xffe, v9, v3
	v_cndmask_b32_e64 v11, 0, 1, vcc_lo
	v_sub_nc_u32_e32 v9, 0x3f1, v15
	v_add_nc_u32_e32 v15, 0xfffffc10, v15
	v_and_or_b32 v11, 0xffe, v14, v11
	v_med3_i32 v14, v16, 0, 13
	v_or_b32_e32 v16, 0x1000, v3
	v_med3_i32 v9, v9, 0, 13
	v_or_b32_e32 v17, 0x1000, v11
	v_lshrrev_b32_e32 v18, v14, v16
	v_lshrrev_b32_e32 v19, v9, v17
	v_lshlrev_b32_e32 v14, v14, v18
	v_lshlrev_b32_e32 v9, v9, v19
	v_cmp_ne_u32_e32 vcc_lo, v14, v16
	v_lshl_or_b32 v16, v13, 12, v3
	v_cndmask_b32_e64 v14, 0, 1, vcc_lo
	v_cmp_ne_u32_e32 vcc_lo, v9, v17
	v_lshl_or_b32 v17, v15, 12, v11
	v_or_b32_e32 v14, v18, v14
	v_cndmask_b32_e64 v9, 0, 1, vcc_lo
	v_cmp_gt_i32_e32 vcc_lo, 1, v13
	v_or_b32_e32 v9, v19, v9
	v_cndmask_b32_e32 v14, v16, v14, vcc_lo
	v_cmp_gt_i32_e32 vcc_lo, 1, v15
	v_and_b32_e32 v16, 7, v14
	v_cndmask_b32_e32 v9, v17, v9, vcc_lo
	v_cmp_ne_u32_e32 vcc_lo, 0, v3
	v_lshrrev_b32_e32 v14, 2, v14
	v_cmp_eq_u32_e64 s0, 3, v16
	v_and_b32_e32 v17, 7, v9
	v_cndmask_b32_e64 v3, 0, 1, vcc_lo
	v_cmp_ne_u32_e32 vcc_lo, 0, v11
	v_lshrrev_b32_e32 v9, 2, v9
	v_cmp_lt_i32_e64 s1, 5, v17
	v_cmp_eq_u32_e64 s2, 3, v17
	v_cndmask_b32_e64 v11, 0, 1, vcc_lo
	v_cmp_lt_i32_e32 vcc_lo, 5, v16
	v_lshl_or_b32 v3, v3, 9, 0x7c00
	v_lshl_or_b32 v11, v11, 9, 0x7c00
	s_or_b32 vcc_lo, s0, vcc_lo
	v_add_co_ci_u32_e32 v14, vcc_lo, 0, v14, vcc_lo
	s_or_b32 vcc_lo, s2, s1
	v_add_co_ci_u32_e32 v9, vcc_lo, 0, v9, vcc_lo
	v_cmp_gt_i32_e32 vcc_lo, 31, v13
	v_cndmask_b32_e32 v14, 0x7c00, v14, vcc_lo
	v_cmp_gt_i32_e32 vcc_lo, 31, v15
	v_cndmask_b32_e32 v9, 0x7c00, v9, vcc_lo
	v_cmp_eq_u32_e32 vcc_lo, 0x40f, v13
	v_cndmask_b32_e32 v3, v14, v3, vcc_lo
	v_cmp_eq_u32_e32 vcc_lo, 0x40f, v15
	v_and_or_b32 v3, 0x8000, v10, v3
	v_cndmask_b32_e32 v9, v9, v11, vcc_lo
	v_add_co_u32 v5, vcc_lo, v5, s4
	v_add_co_ci_u32_e32 v6, vcc_lo, s3, v6, vcc_lo
	v_and_or_b32 v9, 0x8000, v12, v9
	v_and_b32_e32 v3, 0xffff, v3
	v_lshl_or_b32 v3, v9, 16, v3
	global_store_dword v[5:6], v3, off
	global_load_dword v3, v[0:1], off offset:1956
	ds_read2_b32 v[0:1], v4 offset0:105 offset1:182
	s_waitcnt lgkmcnt(0)
	v_lshrrev_b32_e32 v4, 16, v0
	s_waitcnt vmcnt(0)
	v_mul_f16_sdwa v9, v4, v3 dst_sel:DWORD dst_unused:UNUSED_PAD src0_sel:DWORD src1_sel:WORD_1
	v_mul_f16_sdwa v10, v0, v3 dst_sel:DWORD dst_unused:UNUSED_PAD src0_sel:DWORD src1_sel:WORD_1
	v_fmac_f16_e32 v9, v0, v3
	v_fma_f16 v0, v3, v4, -v10
	v_cvt_f32_f16_e32 v3, v9
	v_cvt_f32_f16_e32 v0, v0
	v_cvt_f64_f32_e32 v[3:4], v3
	v_cvt_f64_f32_e32 v[9:10], v0
	v_mul_f64 v[3:4], v[3:4], s[12:13]
	v_mul_f64 v[9:10], v[9:10], s[12:13]
	v_and_or_b32 v0, 0x1ff, v4, v3
	v_and_or_b32 v9, 0x1ff, v10, v9
	v_lshrrev_b32_e32 v3, 8, v4
	v_bfe_u32 v11, v4, 20, 11
	v_lshrrev_b32_e32 v12, 8, v10
	v_cmp_ne_u32_e32 vcc_lo, 0, v0
	v_bfe_u32 v13, v10, 20, 11
	v_lshrrev_b32_e32 v4, 16, v4
	v_sub_nc_u32_e32 v14, 0x3f1, v11
	v_add_nc_u32_e32 v11, 0xfffffc10, v11
	v_cndmask_b32_e64 v0, 0, 1, vcc_lo
	v_cmp_ne_u32_e32 vcc_lo, 0, v9
	v_lshrrev_b32_e32 v10, 16, v10
	v_and_or_b32 v0, 0xffe, v3, v0
	v_cndmask_b32_e64 v9, 0, 1, vcc_lo
	v_sub_nc_u32_e32 v3, 0x3f1, v13
	v_add_nc_u32_e32 v13, 0xfffffc10, v13
	v_and_or_b32 v9, 0xffe, v12, v9
	v_med3_i32 v12, v14, 0, 13
	v_or_b32_e32 v14, 0x1000, v0
	v_med3_i32 v3, v3, 0, 13
	v_or_b32_e32 v15, 0x1000, v9
	v_lshrrev_b32_e32 v16, v12, v14
	v_lshrrev_b32_e32 v17, v3, v15
	v_lshlrev_b32_e32 v12, v12, v16
	v_lshlrev_b32_e32 v3, v3, v17
	v_cmp_ne_u32_e32 vcc_lo, v12, v14
	v_lshl_or_b32 v14, v11, 12, v0
	v_cndmask_b32_e64 v12, 0, 1, vcc_lo
	v_cmp_ne_u32_e32 vcc_lo, v3, v15
	v_lshl_or_b32 v15, v13, 12, v9
	v_or_b32_e32 v12, v16, v12
	v_cndmask_b32_e64 v3, 0, 1, vcc_lo
	v_cmp_gt_i32_e32 vcc_lo, 1, v11
	v_or_b32_e32 v3, v17, v3
	v_cndmask_b32_e32 v12, v14, v12, vcc_lo
	v_cmp_gt_i32_e32 vcc_lo, 1, v13
	v_and_b32_e32 v14, 7, v12
	v_cndmask_b32_e32 v3, v15, v3, vcc_lo
	v_cmp_ne_u32_e32 vcc_lo, 0, v0
	v_lshrrev_b32_e32 v12, 2, v12
	v_cmp_eq_u32_e64 s0, 3, v14
	v_and_b32_e32 v15, 7, v3
	v_cndmask_b32_e64 v0, 0, 1, vcc_lo
	v_cmp_ne_u32_e32 vcc_lo, 0, v9
	v_lshrrev_b32_e32 v3, 2, v3
	v_cmp_lt_i32_e64 s1, 5, v15
	v_cmp_eq_u32_e64 s2, 3, v15
	v_cndmask_b32_e64 v9, 0, 1, vcc_lo
	v_cmp_lt_i32_e32 vcc_lo, 5, v14
	v_lshl_or_b32 v0, v0, 9, 0x7c00
	v_lshl_or_b32 v9, v9, 9, 0x7c00
	s_or_b32 vcc_lo, s0, vcc_lo
	v_add_co_ci_u32_e32 v12, vcc_lo, 0, v12, vcc_lo
	s_or_b32 vcc_lo, s2, s1
	v_add_co_ci_u32_e32 v3, vcc_lo, 0, v3, vcc_lo
	v_cmp_gt_i32_e32 vcc_lo, 31, v11
	v_cndmask_b32_e32 v12, 0x7c00, v12, vcc_lo
	v_cmp_gt_i32_e32 vcc_lo, 31, v13
	v_cndmask_b32_e32 v3, 0x7c00, v3, vcc_lo
	v_cmp_eq_u32_e32 vcc_lo, 0x40f, v11
	v_cndmask_b32_e32 v0, v12, v0, vcc_lo
	v_cmp_eq_u32_e32 vcc_lo, 0x40f, v13
	v_and_or_b32 v0, 0x8000, v4, v0
	v_cndmask_b32_e32 v3, v3, v9, vcc_lo
	v_and_b32_e32 v0, 0xffff, v0
	v_and_or_b32 v9, 0x8000, v10, v3
	v_add_co_u32 v3, vcc_lo, v5, s4
	v_add_co_ci_u32_e32 v4, vcc_lo, s3, v6, vcc_lo
	v_add_co_u32 v5, vcc_lo, 0x1000, v7
	v_lshl_or_b32 v0, v9, 16, v0
	v_add_co_ci_u32_e32 v6, vcc_lo, 0, v8, vcc_lo
	v_lshrrev_b32_e32 v7, 16, v1
	global_store_dword v[3:4], v0, off
	global_load_dword v0, v[5:6], off offset:216
	s_waitcnt vmcnt(0)
	v_mul_f16_sdwa v8, v7, v0 dst_sel:DWORD dst_unused:UNUSED_PAD src0_sel:DWORD src1_sel:WORD_1
	v_mul_f16_sdwa v9, v1, v0 dst_sel:DWORD dst_unused:UNUSED_PAD src0_sel:DWORD src1_sel:WORD_1
	v_fmac_f16_e32 v8, v1, v0
	v_fma_f16 v0, v0, v7, -v9
	v_cvt_f32_f16_e32 v1, v8
	v_cvt_f32_f16_e32 v7, v0
	v_cvt_f64_f32_e32 v[0:1], v1
	v_cvt_f64_f32_e32 v[7:8], v7
	v_mul_f64 v[0:1], v[0:1], s[12:13]
	v_mul_f64 v[7:8], v[7:8], s[12:13]
	v_and_or_b32 v0, 0x1ff, v1, v0
	v_and_or_b32 v7, 0x1ff, v8, v7
	v_lshrrev_b32_e32 v9, 8, v1
	v_bfe_u32 v10, v1, 20, 11
	v_lshrrev_b32_e32 v11, 8, v8
	v_cmp_ne_u32_e32 vcc_lo, 0, v0
	v_bfe_u32 v12, v8, 20, 11
	v_lshrrev_b32_e32 v1, 16, v1
	v_sub_nc_u32_e32 v13, 0x3f1, v10
	v_add_nc_u32_e32 v10, 0xfffffc10, v10
	v_cndmask_b32_e64 v0, 0, 1, vcc_lo
	v_cmp_ne_u32_e32 vcc_lo, 0, v7
	v_lshrrev_b32_e32 v8, 16, v8
	v_and_or_b32 v0, 0xffe, v9, v0
	v_cndmask_b32_e64 v7, 0, 1, vcc_lo
	v_sub_nc_u32_e32 v9, 0x3f1, v12
	v_add_nc_u32_e32 v12, 0xfffffc10, v12
	v_and_or_b32 v7, 0xffe, v11, v7
	v_med3_i32 v11, v13, 0, 13
	v_or_b32_e32 v13, 0x1000, v0
	v_med3_i32 v9, v9, 0, 13
	v_or_b32_e32 v14, 0x1000, v7
	v_lshrrev_b32_e32 v15, v11, v13
	v_lshrrev_b32_e32 v16, v9, v14
	v_lshlrev_b32_e32 v11, v11, v15
	v_lshlrev_b32_e32 v9, v9, v16
	v_cmp_ne_u32_e32 vcc_lo, v11, v13
	v_lshl_or_b32 v13, v10, 12, v0
	v_cndmask_b32_e64 v11, 0, 1, vcc_lo
	v_cmp_ne_u32_e32 vcc_lo, v9, v14
	v_lshl_or_b32 v14, v12, 12, v7
	v_or_b32_e32 v11, v15, v11
	v_cndmask_b32_e64 v9, 0, 1, vcc_lo
	v_cmp_gt_i32_e32 vcc_lo, 1, v10
	v_or_b32_e32 v9, v16, v9
	v_cndmask_b32_e32 v11, v13, v11, vcc_lo
	v_cmp_gt_i32_e32 vcc_lo, 1, v12
	v_and_b32_e32 v13, 7, v11
	v_cndmask_b32_e32 v9, v14, v9, vcc_lo
	v_cmp_ne_u32_e32 vcc_lo, 0, v0
	v_lshrrev_b32_e32 v11, 2, v11
	v_cmp_eq_u32_e64 s0, 3, v13
	v_and_b32_e32 v14, 7, v9
	v_cndmask_b32_e64 v0, 0, 1, vcc_lo
	v_cmp_ne_u32_e32 vcc_lo, 0, v7
	v_lshrrev_b32_e32 v9, 2, v9
	v_cmp_lt_i32_e64 s1, 5, v14
	v_cmp_eq_u32_e64 s2, 3, v14
	v_cndmask_b32_e64 v7, 0, 1, vcc_lo
	v_cmp_lt_i32_e32 vcc_lo, 5, v13
	v_lshl_or_b32 v0, v0, 9, 0x7c00
	v_lshl_or_b32 v7, v7, 9, 0x7c00
	s_or_b32 vcc_lo, s0, vcc_lo
	v_add_co_ci_u32_e32 v11, vcc_lo, 0, v11, vcc_lo
	s_or_b32 vcc_lo, s2, s1
	v_add_co_ci_u32_e32 v9, vcc_lo, 0, v9, vcc_lo
	v_cmp_gt_i32_e32 vcc_lo, 31, v10
	v_cndmask_b32_e32 v11, 0x7c00, v11, vcc_lo
	v_cmp_gt_i32_e32 vcc_lo, 31, v12
	v_cndmask_b32_e32 v9, 0x7c00, v9, vcc_lo
	v_cmp_eq_u32_e32 vcc_lo, 0x40f, v10
	v_cndmask_b32_e32 v0, v11, v0, vcc_lo
	v_cmp_eq_u32_e32 vcc_lo, 0x40f, v12
	v_and_or_b32 v0, 0x8000, v1, v0
	v_cndmask_b32_e32 v7, v9, v7, vcc_lo
	v_and_or_b32 v7, 0x8000, v8, v7
	v_and_b32_e32 v8, 0xffff, v0
	v_add_co_u32 v0, vcc_lo, v3, s4
	v_add_co_ci_u32_e32 v1, vcc_lo, s3, v4, vcc_lo
	v_lshl_or_b32 v3, v7, 16, v8
	global_store_dword v[0:1], v3, off
	global_load_dword v4, v[5:6], off offset:524
	ds_read2_b32 v[2:3], v2 offset0:131 offset1:208
	s_waitcnt lgkmcnt(0)
	v_lshrrev_b32_e32 v7, 16, v2
	s_waitcnt vmcnt(0)
	v_mul_f16_sdwa v8, v7, v4 dst_sel:DWORD dst_unused:UNUSED_PAD src0_sel:DWORD src1_sel:WORD_1
	v_mul_f16_sdwa v9, v2, v4 dst_sel:DWORD dst_unused:UNUSED_PAD src0_sel:DWORD src1_sel:WORD_1
	v_fmac_f16_e32 v8, v2, v4
	v_fma_f16 v2, v4, v7, -v9
	v_cvt_f32_f16_e32 v4, v8
	v_cvt_f32_f16_e32 v2, v2
	v_cvt_f64_f32_e32 v[7:8], v4
	v_cvt_f64_f32_e32 v[9:10], v2
	v_mul_f64 v[7:8], v[7:8], s[12:13]
	v_mul_f64 v[9:10], v[9:10], s[12:13]
	v_and_or_b32 v2, 0x1ff, v8, v7
	v_and_or_b32 v9, 0x1ff, v10, v9
	v_lshrrev_b32_e32 v4, 8, v8
	v_bfe_u32 v7, v8, 20, 11
	v_lshrrev_b32_e32 v11, 8, v10
	v_cmp_ne_u32_e32 vcc_lo, 0, v2
	v_bfe_u32 v12, v10, 20, 11
	v_lshrrev_b32_e32 v8, 16, v8
	v_sub_nc_u32_e32 v13, 0x3f1, v7
	v_add_nc_u32_e32 v7, 0xfffffc10, v7
	v_cndmask_b32_e64 v2, 0, 1, vcc_lo
	v_cmp_ne_u32_e32 vcc_lo, 0, v9
	v_and_or_b32 v2, 0xffe, v4, v2
	v_cndmask_b32_e64 v9, 0, 1, vcc_lo
	v_sub_nc_u32_e32 v4, 0x3f1, v12
	v_add_nc_u32_e32 v12, 0xfffffc10, v12
	v_and_or_b32 v9, 0xffe, v11, v9
	v_med3_i32 v11, v13, 0, 13
	v_or_b32_e32 v13, 0x1000, v2
	v_med3_i32 v4, v4, 0, 13
	v_or_b32_e32 v14, 0x1000, v9
	v_lshrrev_b32_e32 v15, v11, v13
	v_lshrrev_b32_e32 v16, v4, v14
	v_lshlrev_b32_e32 v11, v11, v15
	v_lshlrev_b32_e32 v4, v4, v16
	v_cmp_ne_u32_e32 vcc_lo, v11, v13
	v_lshl_or_b32 v13, v7, 12, v2
	v_cndmask_b32_e64 v11, 0, 1, vcc_lo
	v_cmp_ne_u32_e32 vcc_lo, v4, v14
	v_lshl_or_b32 v14, v12, 12, v9
	v_or_b32_e32 v11, v15, v11
	v_cndmask_b32_e64 v4, 0, 1, vcc_lo
	v_cmp_gt_i32_e32 vcc_lo, 1, v7
	v_or_b32_e32 v4, v16, v4
	v_cndmask_b32_e32 v11, v13, v11, vcc_lo
	v_cmp_gt_i32_e32 vcc_lo, 1, v12
	v_and_b32_e32 v13, 7, v11
	v_cndmask_b32_e32 v4, v14, v4, vcc_lo
	v_cmp_ne_u32_e32 vcc_lo, 0, v2
	v_lshrrev_b32_e32 v11, 2, v11
	v_cmp_eq_u32_e64 s0, 3, v13
	v_and_b32_e32 v14, 7, v4
	v_cndmask_b32_e64 v2, 0, 1, vcc_lo
	v_cmp_ne_u32_e32 vcc_lo, 0, v9
	v_lshrrev_b32_e32 v4, 2, v4
	v_cmp_lt_i32_e64 s1, 5, v14
	v_cmp_eq_u32_e64 s2, 3, v14
	v_cndmask_b32_e64 v9, 0, 1, vcc_lo
	v_cmp_lt_i32_e32 vcc_lo, 5, v13
	v_lshl_or_b32 v2, v2, 9, 0x7c00
	v_lshl_or_b32 v9, v9, 9, 0x7c00
	s_or_b32 vcc_lo, s0, vcc_lo
	v_add_co_ci_u32_e32 v11, vcc_lo, 0, v11, vcc_lo
	s_or_b32 vcc_lo, s2, s1
	v_add_co_ci_u32_e32 v4, vcc_lo, 0, v4, vcc_lo
	v_cmp_gt_i32_e32 vcc_lo, 31, v7
	v_cndmask_b32_e32 v11, 0x7c00, v11, vcc_lo
	v_cmp_gt_i32_e32 vcc_lo, 31, v12
	v_cndmask_b32_e32 v4, 0x7c00, v4, vcc_lo
	v_cmp_eq_u32_e32 vcc_lo, 0x40f, v7
	v_lshrrev_b32_e32 v7, 16, v10
	v_cndmask_b32_e32 v2, v11, v2, vcc_lo
	v_cmp_eq_u32_e32 vcc_lo, 0x40f, v12
	v_and_or_b32 v2, 0x8000, v8, v2
	v_cndmask_b32_e32 v4, v4, v9, vcc_lo
	v_add_co_u32 v0, vcc_lo, v0, s4
	v_add_co_ci_u32_e32 v1, vcc_lo, s3, v1, vcc_lo
	v_and_or_b32 v4, 0x8000, v7, v4
	v_and_b32_e32 v2, 0xffff, v2
	v_lshl_or_b32 v2, v4, 16, v2
	v_lshrrev_b32_e32 v4, 16, v3
	global_store_dword v[0:1], v2, off
	global_load_dword v2, v[5:6], off offset:832
	s_waitcnt vmcnt(0)
	v_mul_f16_sdwa v5, v4, v2 dst_sel:DWORD dst_unused:UNUSED_PAD src0_sel:DWORD src1_sel:WORD_1
	v_mul_f16_sdwa v6, v3, v2 dst_sel:DWORD dst_unused:UNUSED_PAD src0_sel:DWORD src1_sel:WORD_1
	v_fmac_f16_e32 v5, v3, v2
	v_fma_f16 v2, v2, v4, -v6
	v_cvt_f32_f16_e32 v3, v5
	v_cvt_f32_f16_e32 v4, v2
	v_cvt_f64_f32_e32 v[2:3], v3
	v_cvt_f64_f32_e32 v[4:5], v4
	v_mul_f64 v[2:3], v[2:3], s[12:13]
	v_mul_f64 v[4:5], v[4:5], s[12:13]
	v_and_or_b32 v2, 0x1ff, v3, v2
	v_and_or_b32 v4, 0x1ff, v5, v4
	v_lshrrev_b32_e32 v6, 8, v3
	v_bfe_u32 v7, v3, 20, 11
	v_lshrrev_b32_e32 v8, 8, v5
	v_cmp_ne_u32_e32 vcc_lo, 0, v2
	v_bfe_u32 v9, v5, 20, 11
	v_lshrrev_b32_e32 v3, 16, v3
	v_sub_nc_u32_e32 v10, 0x3f1, v7
	v_add_nc_u32_e32 v7, 0xfffffc10, v7
	v_cndmask_b32_e64 v2, 0, 1, vcc_lo
	v_cmp_ne_u32_e32 vcc_lo, 0, v4
	v_lshrrev_b32_e32 v5, 16, v5
	v_and_or_b32 v2, 0xffe, v6, v2
	v_cndmask_b32_e64 v4, 0, 1, vcc_lo
	v_sub_nc_u32_e32 v6, 0x3f1, v9
	v_add_nc_u32_e32 v9, 0xfffffc10, v9
	v_and_or_b32 v4, 0xffe, v8, v4
	v_med3_i32 v8, v10, 0, 13
	v_or_b32_e32 v10, 0x1000, v2
	v_med3_i32 v6, v6, 0, 13
	v_or_b32_e32 v11, 0x1000, v4
	v_lshrrev_b32_e32 v12, v8, v10
	v_lshrrev_b32_e32 v13, v6, v11
	v_lshlrev_b32_e32 v8, v8, v12
	v_lshlrev_b32_e32 v6, v6, v13
	v_cmp_ne_u32_e32 vcc_lo, v8, v10
	v_lshl_or_b32 v10, v7, 12, v2
	v_cndmask_b32_e64 v8, 0, 1, vcc_lo
	v_cmp_ne_u32_e32 vcc_lo, v6, v11
	v_lshl_or_b32 v11, v9, 12, v4
	v_or_b32_e32 v8, v12, v8
	v_cndmask_b32_e64 v6, 0, 1, vcc_lo
	v_cmp_gt_i32_e32 vcc_lo, 1, v7
	v_or_b32_e32 v6, v13, v6
	v_cndmask_b32_e32 v8, v10, v8, vcc_lo
	v_cmp_gt_i32_e32 vcc_lo, 1, v9
	v_and_b32_e32 v10, 7, v8
	v_cndmask_b32_e32 v6, v11, v6, vcc_lo
	v_cmp_ne_u32_e32 vcc_lo, 0, v2
	v_lshrrev_b32_e32 v8, 2, v8
	v_cmp_eq_u32_e64 s0, 3, v10
	v_and_b32_e32 v11, 7, v6
	v_cndmask_b32_e64 v2, 0, 1, vcc_lo
	v_cmp_ne_u32_e32 vcc_lo, 0, v4
	v_lshrrev_b32_e32 v6, 2, v6
	v_cmp_lt_i32_e64 s1, 5, v11
	v_cmp_eq_u32_e64 s2, 3, v11
	v_cndmask_b32_e64 v4, 0, 1, vcc_lo
	v_cmp_lt_i32_e32 vcc_lo, 5, v10
	v_lshl_or_b32 v2, v2, 9, 0x7c00
	v_lshl_or_b32 v4, v4, 9, 0x7c00
	s_or_b32 vcc_lo, s0, vcc_lo
	v_add_co_ci_u32_e32 v8, vcc_lo, 0, v8, vcc_lo
	s_or_b32 vcc_lo, s2, s1
	v_add_co_ci_u32_e32 v6, vcc_lo, 0, v6, vcc_lo
	v_cmp_gt_i32_e32 vcc_lo, 31, v7
	v_cndmask_b32_e32 v8, 0x7c00, v8, vcc_lo
	v_cmp_gt_i32_e32 vcc_lo, 31, v9
	v_cndmask_b32_e32 v6, 0x7c00, v6, vcc_lo
	v_cmp_eq_u32_e32 vcc_lo, 0x40f, v7
	v_cndmask_b32_e32 v2, v8, v2, vcc_lo
	v_cmp_eq_u32_e32 vcc_lo, 0x40f, v9
	v_and_or_b32 v2, 0x8000, v3, v2
	v_cndmask_b32_e32 v4, v6, v4, vcc_lo
	v_add_co_u32 v0, vcc_lo, v0, s4
	v_add_co_ci_u32_e32 v1, vcc_lo, s3, v1, vcc_lo
	v_and_or_b32 v3, 0x8000, v5, v4
	v_and_b32_e32 v2, 0xffff, v2
	v_lshl_or_b32 v2, v3, 16, v2
	global_store_dword v[0:1], v2, off
.LBB0_23:
	s_endpgm
	.section	.rodata,"a",@progbits
	.p2align	6, 0x0
	.amdhsa_kernel bluestein_single_back_len1309_dim1_half_op_CI_CI
		.amdhsa_group_segment_fixed_size 5236
		.amdhsa_private_segment_fixed_size 0
		.amdhsa_kernarg_size 104
		.amdhsa_user_sgpr_count 6
		.amdhsa_user_sgpr_private_segment_buffer 1
		.amdhsa_user_sgpr_dispatch_ptr 0
		.amdhsa_user_sgpr_queue_ptr 0
		.amdhsa_user_sgpr_kernarg_segment_ptr 1
		.amdhsa_user_sgpr_dispatch_id 0
		.amdhsa_user_sgpr_flat_scratch_init 0
		.amdhsa_user_sgpr_private_segment_size 0
		.amdhsa_wavefront_size32 1
		.amdhsa_uses_dynamic_stack 0
		.amdhsa_system_sgpr_private_segment_wavefront_offset 0
		.amdhsa_system_sgpr_workgroup_id_x 1
		.amdhsa_system_sgpr_workgroup_id_y 0
		.amdhsa_system_sgpr_workgroup_id_z 0
		.amdhsa_system_sgpr_workgroup_info 0
		.amdhsa_system_vgpr_workitem_id 0
		.amdhsa_next_free_vgpr 193
		.amdhsa_next_free_sgpr 16
		.amdhsa_reserve_vcc 1
		.amdhsa_reserve_flat_scratch 0
		.amdhsa_float_round_mode_32 0
		.amdhsa_float_round_mode_16_64 0
		.amdhsa_float_denorm_mode_32 3
		.amdhsa_float_denorm_mode_16_64 3
		.amdhsa_dx10_clamp 1
		.amdhsa_ieee_mode 1
		.amdhsa_fp16_overflow 0
		.amdhsa_workgroup_processor_mode 1
		.amdhsa_memory_ordered 1
		.amdhsa_forward_progress 0
		.amdhsa_shared_vgpr_count 0
		.amdhsa_exception_fp_ieee_invalid_op 0
		.amdhsa_exception_fp_denorm_src 0
		.amdhsa_exception_fp_ieee_div_zero 0
		.amdhsa_exception_fp_ieee_overflow 0
		.amdhsa_exception_fp_ieee_underflow 0
		.amdhsa_exception_fp_ieee_inexact 0
		.amdhsa_exception_int_div_zero 0
	.end_amdhsa_kernel
	.text
.Lfunc_end0:
	.size	bluestein_single_back_len1309_dim1_half_op_CI_CI, .Lfunc_end0-bluestein_single_back_len1309_dim1_half_op_CI_CI
                                        ; -- End function
	.section	.AMDGPU.csdata,"",@progbits
; Kernel info:
; codeLenInByte = 32308
; NumSgprs: 18
; NumVgprs: 193
; ScratchSize: 0
; MemoryBound: 0
; FloatMode: 240
; IeeeMode: 1
; LDSByteSize: 5236 bytes/workgroup (compile time only)
; SGPRBlocks: 2
; VGPRBlocks: 24
; NumSGPRsForWavesPerEU: 18
; NumVGPRsForWavesPerEU: 193
; Occupancy: 4
; WaveLimiterHint : 1
; COMPUTE_PGM_RSRC2:SCRATCH_EN: 0
; COMPUTE_PGM_RSRC2:USER_SGPR: 6
; COMPUTE_PGM_RSRC2:TRAP_HANDLER: 0
; COMPUTE_PGM_RSRC2:TGID_X_EN: 1
; COMPUTE_PGM_RSRC2:TGID_Y_EN: 0
; COMPUTE_PGM_RSRC2:TGID_Z_EN: 0
; COMPUTE_PGM_RSRC2:TIDIG_COMP_CNT: 0
	.text
	.p2alignl 6, 3214868480
	.fill 48, 4, 3214868480
	.type	__hip_cuid_c8661262c6058985,@object ; @__hip_cuid_c8661262c6058985
	.section	.bss,"aw",@nobits
	.globl	__hip_cuid_c8661262c6058985
__hip_cuid_c8661262c6058985:
	.byte	0                               ; 0x0
	.size	__hip_cuid_c8661262c6058985, 1

	.ident	"AMD clang version 19.0.0git (https://github.com/RadeonOpenCompute/llvm-project roc-6.4.0 25133 c7fe45cf4b819c5991fe208aaa96edf142730f1d)"
	.section	".note.GNU-stack","",@progbits
	.addrsig
	.addrsig_sym __hip_cuid_c8661262c6058985
	.amdgpu_metadata
---
amdhsa.kernels:
  - .args:
      - .actual_access:  read_only
        .address_space:  global
        .offset:         0
        .size:           8
        .value_kind:     global_buffer
      - .actual_access:  read_only
        .address_space:  global
        .offset:         8
        .size:           8
        .value_kind:     global_buffer
      - .actual_access:  read_only
        .address_space:  global
        .offset:         16
        .size:           8
        .value_kind:     global_buffer
      - .actual_access:  read_only
        .address_space:  global
        .offset:         24
        .size:           8
        .value_kind:     global_buffer
      - .actual_access:  read_only
        .address_space:  global
        .offset:         32
        .size:           8
        .value_kind:     global_buffer
      - .offset:         40
        .size:           8
        .value_kind:     by_value
      - .address_space:  global
        .offset:         48
        .size:           8
        .value_kind:     global_buffer
      - .address_space:  global
        .offset:         56
        .size:           8
        .value_kind:     global_buffer
      - .address_space:  global
        .offset:         64
        .size:           8
        .value_kind:     global_buffer
      - .address_space:  global
        .offset:         72
        .size:           8
        .value_kind:     global_buffer
      - .offset:         80
        .size:           4
        .value_kind:     by_value
      - .address_space:  global
        .offset:         88
        .size:           8
        .value_kind:     global_buffer
      - .address_space:  global
        .offset:         96
        .size:           8
        .value_kind:     global_buffer
    .group_segment_fixed_size: 5236
    .kernarg_segment_align: 8
    .kernarg_segment_size: 104
    .language:       OpenCL C
    .language_version:
      - 2
      - 0
    .max_flat_workgroup_size: 119
    .name:           bluestein_single_back_len1309_dim1_half_op_CI_CI
    .private_segment_fixed_size: 0
    .sgpr_count:     18
    .sgpr_spill_count: 0
    .symbol:         bluestein_single_back_len1309_dim1_half_op_CI_CI.kd
    .uniform_work_group_size: 1
    .uses_dynamic_stack: false
    .vgpr_count:     193
    .vgpr_spill_count: 0
    .wavefront_size: 32
    .workgroup_processor_mode: 1
amdhsa.target:   amdgcn-amd-amdhsa--gfx1030
amdhsa.version:
  - 1
  - 2
...

	.end_amdgpu_metadata
